;; amdgpu-corpus repo=ROCm/rocFFT kind=compiled arch=gfx1201 opt=O3
	.text
	.amdgcn_target "amdgcn-amd-amdhsa--gfx1201"
	.amdhsa_code_object_version 6
	.protected	bluestein_single_fwd_len1485_dim1_sp_op_CI_CI ; -- Begin function bluestein_single_fwd_len1485_dim1_sp_op_CI_CI
	.globl	bluestein_single_fwd_len1485_dim1_sp_op_CI_CI
	.p2align	8
	.type	bluestein_single_fwd_len1485_dim1_sp_op_CI_CI,@function
bluestein_single_fwd_len1485_dim1_sp_op_CI_CI: ; @bluestein_single_fwd_len1485_dim1_sp_op_CI_CI
; %bb.0:
	s_load_b128 s[8:11], s[0:1], 0x28
	v_mul_u32_u24_e32 v1, 0x18e, v0
	s_mov_b32 s2, exec_lo
	v_mov_b32_e32 v65, 0
	s_delay_alu instid0(VALU_DEP_2) | instskip(NEXT) | instid1(VALU_DEP_1)
	v_lshrrev_b32_e32 v1, 16, v1
	v_add_nc_u32_e32 v64, ttmp9, v1
	s_wait_kmcnt 0x0
	s_delay_alu instid0(VALU_DEP_1)
	v_cmpx_gt_u64_e64 s[8:9], v[64:65]
	s_cbranch_execz .LBB0_18
; %bb.1:
	s_load_b128 s[4:7], s[0:1], 0x18
	v_mul_lo_u16 v1, 0xa5, v1
	s_delay_alu instid0(VALU_DEP_1) | instskip(NEXT) | instid1(VALU_DEP_1)
	v_sub_nc_u16 v30, v0, v1
	v_and_b32_e32 v97, 0xffff, v30
	v_mul_lo_u16 v22, v30, 3
	s_delay_alu instid0(VALU_DEP_2) | instskip(SKIP_2) | instid1(VALU_DEP_1)
	v_lshlrev_b32_e32 v98, 3, v97
	s_wait_kmcnt 0x0
	s_load_b128 s[12:15], s[4:5], 0x0
	v_add_nc_u32_e32 v24, 0x2400, v98
	s_wait_kmcnt 0x0
	v_mad_co_u64_u32 v[0:1], null, s14, v64, 0
	v_mad_co_u64_u32 v[2:3], null, s12, v97, 0
	s_mul_u64 s[2:3], s[12:13], 0xf78
	s_mul_i32 s4, s13, 0xffffe638
	s_delay_alu instid0(SALU_CYCLE_1) | instskip(NEXT) | instid1(VALU_DEP_1)
	s_sub_co_i32 s4, s4, s12
	v_mad_co_u64_u32 v[4:5], null, s15, v64, v[1:2]
	s_delay_alu instid0(VALU_DEP_1) | instskip(SKIP_1) | instid1(VALU_DEP_1)
	v_mad_co_u64_u32 v[5:6], null, s13, v97, v[3:4]
	v_mov_b32_e32 v1, v4
	v_lshlrev_b64_e32 v[0:1], 3, v[0:1]
	s_delay_alu instid0(VALU_DEP_3) | instskip(NEXT) | instid1(VALU_DEP_2)
	v_mov_b32_e32 v3, v5
	v_add_co_u32 v0, vcc_lo, s10, v0
	s_delay_alu instid0(VALU_DEP_2) | instskip(NEXT) | instid1(VALU_DEP_4)
	v_lshlrev_b64_e32 v[2:3], 3, v[2:3]
	v_add_co_ci_u32_e32 v1, vcc_lo, s11, v1, vcc_lo
	s_load_b128 s[8:11], s[0:1], 0x0
	s_delay_alu instid0(VALU_DEP_2) | instskip(SKIP_1) | instid1(VALU_DEP_2)
	v_add_co_u32 v0, vcc_lo, v0, v2
	s_wait_alu 0xfffd
	v_add_co_ci_u32_e32 v1, vcc_lo, v1, v3, vcc_lo
	s_delay_alu instid0(VALU_DEP_2) | instskip(SKIP_1) | instid1(VALU_DEP_2)
	v_add_co_u32 v2, vcc_lo, v0, s2
	s_wait_alu 0xfffd
	v_add_co_ci_u32_e32 v3, vcc_lo, s3, v1, vcc_lo
	global_load_b64 v[0:1], v[0:1], off
	v_add_co_u32 v4, vcc_lo, v2, s2
	s_wait_alu 0xfffd
	v_add_co_ci_u32_e32 v5, vcc_lo, s3, v3, vcc_lo
	s_delay_alu instid0(VALU_DEP_1) | instskip(NEXT) | instid1(VALU_DEP_1)
	v_mad_co_u64_u32 v[6:7], null, 0xffffe638, s12, v[4:5]
	v_add_nc_u32_e32 v7, s4, v7
	s_delay_alu instid0(VALU_DEP_2) | instskip(SKIP_1) | instid1(VALU_DEP_2)
	v_add_co_u32 v8, vcc_lo, v6, s2
	s_wait_alu 0xfffd
	v_add_co_ci_u32_e32 v9, vcc_lo, s3, v7, vcc_lo
	s_delay_alu instid0(VALU_DEP_2) | instskip(SKIP_1) | instid1(VALU_DEP_2)
	v_add_co_u32 v10, vcc_lo, v8, s2
	s_wait_alu 0xfffd
	v_add_co_ci_u32_e32 v11, vcc_lo, s3, v9, vcc_lo
	s_delay_alu instid0(VALU_DEP_1) | instskip(NEXT) | instid1(VALU_DEP_1)
	v_mad_co_u64_u32 v[12:13], null, 0xffffe638, s12, v[10:11]
	v_add_nc_u32_e32 v13, s4, v13
	s_delay_alu instid0(VALU_DEP_2) | instskip(SKIP_1) | instid1(VALU_DEP_2)
	v_add_co_u32 v14, vcc_lo, v12, s2
	s_wait_alu 0xfffd
	v_add_co_ci_u32_e32 v15, vcc_lo, s3, v13, vcc_lo
	s_delay_alu instid0(VALU_DEP_2) | instskip(SKIP_1) | instid1(VALU_DEP_2)
	v_add_co_u32 v16, vcc_lo, v14, s2
	s_wait_alu 0xfffd
	v_add_co_ci_u32_e32 v17, vcc_lo, s3, v15, vcc_lo
	s_load_b64 s[2:3], s[0:1], 0x38
	s_wait_kmcnt 0x0
	s_clause 0x1
	global_load_b64 v[81:82], v98, s[8:9]
	global_load_b64 v[75:76], v98, s[8:9] offset:3960
	global_load_b64 v[2:3], v[2:3], off
	global_load_b64 v[77:78], v98, s[8:9] offset:7920
	v_add_nc_u32_e32 v26, 0x1e00, v98
	v_cmp_gt_u16_e32 vcc_lo, 0x84, v30
                                        ; implicit-def: $vgpr30
	s_wait_loadcnt 0x3
	v_mul_f32_e32 v18, v1, v82
	global_load_b64 v[4:5], v[4:5], off
	global_load_b64 v[79:80], v98, s[8:9] offset:1320
	global_load_b64 v[6:7], v[6:7], off
	s_clause 0x2
	global_load_b64 v[69:70], v98, s[8:9] offset:5280
	global_load_b64 v[67:68], v98, s[8:9] offset:9240
	;; [unrolled: 1-line block ×3, first 2 shown]
	global_load_b64 v[8:9], v[8:9], off
	global_load_b64 v[10:11], v[10:11], off
	s_wait_loadcnt 0x9
	v_dual_mul_f32 v20, v3, v76 :: v_dual_mul_f32 v19, v0, v82
	v_dual_fmac_f32 v18, v0, v81 :: v_dual_add_nc_u32 v23, 0x1400, v98
	v_add_co_u32 v62, null, 0x14a, v97
	s_delay_alu instid0(VALU_DEP_3)
	v_fmac_f32_e32 v20, v2, v75
	global_load_b64 v[12:13], v[12:13], off
	global_load_b64 v[71:72], v98, s[8:9] offset:6600
	global_load_b64 v[14:15], v[14:15], off
	global_load_b64 v[73:74], v98, s[8:9] offset:10560
	global_load_b64 v[16:17], v[16:17], off
	v_fma_f32 v19, v1, v81, -v19
	v_mul_f32_e32 v1, v2, v76
	s_load_b128 s[4:7], s[6:7], 0x0
	v_add_co_u32 v63, null, 0xa5, v97
	s_delay_alu instid0(VALU_DEP_2) | instskip(SKIP_3) | instid1(VALU_DEP_2)
	v_fma_f32 v21, v3, v75, -v1
	s_wait_loadcnt 0xa
	v_dual_mul_f32 v0, v5, v78 :: v_dual_mul_f32 v3, v6, v80
	v_dual_mul_f32 v2, v7, v80 :: v_dual_mul_f32 v27, v4, v78
	v_dual_fmac_f32 v0, v4, v77 :: v_dual_add_nc_u32 v25, 0x800, v98
	s_wait_loadcnt 0x6
	v_mul_f32_e32 v4, v9, v70
	v_fma_f32 v3, v7, v79, -v3
	s_wait_loadcnt 0x5
	v_mul_f32_e32 v7, v10, v68
	v_fmac_f32_e32 v2, v6, v79
	v_fma_f32 v1, v5, v77, -v27
	v_dual_mul_f32 v5, v8, v70 :: v_dual_mul_f32 v6, v11, v68
	v_fmac_f32_e32 v4, v8, v69
	s_wait_loadcnt 0x4
	v_mul_f32_e32 v8, v13, v66
	v_fma_f32 v7, v11, v67, -v7
	s_wait_loadcnt 0x2
	v_mul_f32_e32 v11, v14, v72
	v_fma_f32 v5, v9, v69, -v5
	v_dual_fmac_f32 v6, v10, v67 :: v_dual_mul_f32 v9, v12, v66
	s_wait_loadcnt 0x0
	v_dual_mul_f32 v10, v15, v72 :: v_dual_mul_f32 v27, v16, v74
	v_fma_f32 v11, v15, v71, -v11
	v_mul_u32_u24_e32 v15, 3, v62
	v_fmac_f32_e32 v8, v12, v65
	v_mul_f32_e32 v12, v17, v74
	v_fma_f32 v9, v13, v65, -v9
	v_fmac_f32_e32 v10, v14, v71
	v_fma_f32 v13, v17, v73, -v27
	s_delay_alu instid0(VALU_DEP_4)
	v_dual_fmac_f32 v12, v16, v73 :: v_dual_lshlrev_b32 v89, 3, v15
	ds_store_b64 v98, v[20:21] offset:3960
	ds_store_b64 v98, v[0:1] offset:7920
	ds_store_2addr_b64 v98, v[18:19], v[2:3] offset1:165
	ds_store_b64 v98, v[8:9] offset:2640
	ds_store_2addr_b64 v23, v[4:5], v[10:11] offset0:20 offset1:185
	ds_store_2addr_b64 v24, v[6:7], v[12:13] offset0:3 offset1:168
	global_wb scope:SCOPE_SE
	s_wait_dscnt 0x0
	s_wait_kmcnt 0x0
	s_barrier_signal -1
	s_barrier_wait -1
	global_inv scope:SCOPE_SE
	ds_load_2addr_b64 v[38:41], v98 offset1:165
	ds_load_2addr_b64 v[4:7], v25 offset0:74 offset1:239
	ds_load_2addr_b64 v[0:3], v26 offset0:30 offset1:195
	;; [unrolled: 1-line block ×3, first 2 shown]
	v_and_b32_e32 v12, 0xffff, v22
	v_mul_u32_u24_e32 v14, 3, v63
	s_wait_dscnt 0x2
	v_add_f32_e32 v17, v39, v7
	s_wait_dscnt 0x1
	v_add_f32_e32 v15, v6, v0
	s_wait_dscnt 0x0
	v_add_f32_e32 v21, v41, v9
	v_lshlrev_b32_e32 v91, 3, v12
	ds_load_b64 v[12:13], v98 offset:10560
	v_dual_sub_f32 v16, v7, v1 :: v_dual_add_f32 v19, v8, v2
	v_dual_add_f32 v7, v7, v1 :: v_dual_lshlrev_b32 v90, 3, v14
	v_dual_add_f32 v14, v38, v6 :: v_dual_add_f32 v27, v5, v11
	v_add_f32_e32 v22, v9, v3
	v_dual_sub_f32 v18, v6, v0 :: v_dual_sub_f32 v23, v8, v2
	v_add_f32_e32 v6, v40, v8
	v_sub_f32_e32 v20, v9, v3
	v_dual_add_f32 v24, v4, v10 :: v_dual_add_f32 v1, v17, v1
	v_fma_f32 v8, -0.5, v15, v38
	v_fma_f32 v9, -0.5, v7, v39
	;; [unrolled: 1-line block ×3, first 2 shown]
	v_dual_add_f32 v0, v14, v0 :: v_dual_add_f32 v3, v21, v3
	global_wb scope:SCOPE_SE
	s_wait_dscnt 0x0
	v_dual_add_f32 v25, v10, v12 :: v_dual_sub_f32 v26, v11, v13
	v_add_f32_e32 v11, v11, v13
	v_add_f32_e32 v7, v27, v13
	v_dual_fmac_f32 v41, -0.5, v22 :: v_dual_sub_f32 v28, v10, v12
	s_delay_alu instid0(VALU_DEP_4) | instskip(NEXT) | instid1(VALU_DEP_4)
	v_fma_f32 v4, -0.5, v25, v4
	v_dual_fmac_f32 v5, -0.5, v11 :: v_dual_add_f32 v2, v6, v2
	s_delay_alu instid0(VALU_DEP_3) | instskip(SKIP_2) | instid1(VALU_DEP_4)
	v_dual_fmamk_f32 v13, v23, 0xbf5db3d7, v41 :: v_dual_add_f32 v6, v24, v12
	v_fmamk_f32 v11, v18, 0xbf5db3d7, v9
	v_dual_fmamk_f32 v10, v16, 0x3f5db3d7, v8 :: v_dual_fmac_f32 v41, 0x3f5db3d7, v23
	v_dual_fmac_f32 v8, 0xbf5db3d7, v16 :: v_dual_fmamk_f32 v21, v28, 0xbf5db3d7, v5
	v_dual_fmac_f32 v9, 0x3f5db3d7, v18 :: v_dual_fmamk_f32 v12, v20, 0x3f5db3d7, v40
	v_fmac_f32_e32 v5, 0x3f5db3d7, v28
	v_fmac_f32_e32 v40, 0xbf5db3d7, v20
	v_fmamk_f32 v20, v26, 0x3f5db3d7, v4
	s_barrier_signal -1
	s_barrier_wait -1
	global_inv scope:SCOPE_SE
	v_fmac_f32_e32 v4, 0xbf5db3d7, v26
	ds_store_2addr_b64 v91, v[0:1], v[10:11] offset1:1
	ds_store_b64 v91, v[8:9] offset:16
	ds_store_2addr_b64 v90, v[2:3], v[12:13] offset1:1
	ds_store_b64 v90, v[40:41] offset:16
	;; [unrolled: 2-line block ×3, first 2 shown]
	global_wb scope:SCOPE_SE
	s_wait_dscnt 0x0
	s_barrier_signal -1
	s_barrier_wait -1
	global_inv scope:SCOPE_SE
	ds_load_b64 v[44:45], v98
	ds_load_b64 v[28:29], v98 offset:2376
	ds_load_b64 v[26:27], v98 offset:4752
	;; [unrolled: 1-line block ×4, first 2 shown]
	s_and_saveexec_b32 s0, vcc_lo
	s_cbranch_execz .LBB0_3
; %bb.2:
	ds_load_b64 v[40:41], v98 offset:1320
	ds_load_b64 v[6:7], v98 offset:3696
	;; [unrolled: 1-line block ×5, first 2 shown]
.LBB0_3:
	s_wait_alu 0xfffe
	s_or_b32 exec_lo, exec_lo, s0
	v_and_b32_e32 v32, 0xff, v97
	s_delay_alu instid0(VALU_DEP_1) | instskip(NEXT) | instid1(VALU_DEP_1)
	v_mul_lo_u16 v0, 0xab, v32
	v_lshrrev_b16 v33, 9, v0
	s_delay_alu instid0(VALU_DEP_1) | instskip(NEXT) | instid1(VALU_DEP_1)
	v_mul_lo_u16 v1, v33, 3
	v_sub_nc_u16 v1, v97, v1
	s_delay_alu instid0(VALU_DEP_1) | instskip(NEXT) | instid1(VALU_DEP_1)
	v_and_b32_e32 v34, 0xff, v1
	v_lshlrev_b32_e32 v1, 5, v34
	s_clause 0x1
	global_load_b128 v[16:19], v1, s[10:11]
	global_load_b128 v[8:11], v1, s[10:11] offset:16
	v_and_b32_e32 v33, 0xffff, v33
	v_and_b32_e32 v0, 0xffff, v63
	s_wait_loadcnt_dscnt 0x102
	v_mul_f32_e32 v36, v26, v19
	s_delay_alu instid0(VALU_DEP_3) | instskip(SKIP_4) | instid1(VALU_DEP_3)
	v_mul_u32_u24_e32 v33, 15, v33
	s_wait_loadcnt_dscnt 0x0
	v_dual_mul_f32 v39, v24, v9 :: v_dual_mul_f32 v38, v23, v11
	v_mul_f32_e32 v35, v27, v19
	v_mul_f32_e32 v37, v25, v9
	v_fmac_f32_e32 v39, v25, v8
	v_add_lshl_u32 v103, v33, v34, 3
	v_mul_f32_e32 v33, v29, v17
	v_mul_u32_u24_e32 v0, 0xaaab, v0
	v_mul_f32_e32 v34, v28, v17
	v_fma_f32 v26, v26, v18, -v35
	v_fma_f32 v24, v24, v8, -v37
	;; [unrolled: 1-line block ×3, first 2 shown]
	v_lshrrev_b32_e32 v100, 17, v0
	s_delay_alu instid0(VALU_DEP_3) | instskip(NEXT) | instid1(VALU_DEP_2)
	v_sub_f32_e32 v50, v26, v24
	v_mul_lo_u16 v0, v100, 3
	s_delay_alu instid0(VALU_DEP_1) | instskip(NEXT) | instid1(VALU_DEP_1)
	v_sub_nc_u16 v101, v63, v0
	v_lshlrev_b16 v0, 2, v101
	s_delay_alu instid0(VALU_DEP_1) | instskip(NEXT) | instid1(VALU_DEP_1)
	v_and_b32_e32 v0, 0xffff, v0
	v_lshlrev_b32_e32 v0, 3, v0
	s_clause 0x1
	global_load_b128 v[12:15], v0, s[10:11]
	global_load_b128 v[0:3], v0, s[10:11] offset:16
	v_mul_f32_e32 v48, v22, v11
	v_fmac_f32_e32 v34, v29, v16
	v_fmac_f32_e32 v36, v27, v18
	v_fma_f32 v22, v22, v10, -v38
	global_wb scope:SCOPE_SE
	s_wait_loadcnt 0x0
	s_barrier_signal -1
	s_barrier_wait -1
	global_inv scope:SCOPE_SE
	v_dual_sub_f32 v38, v24, v22 :: v_dual_mul_f32 v27, v21, v15
	v_mul_f32_e32 v25, v6, v13
	v_mul_f32_e32 v29, v20, v15
	v_dual_mul_f32 v33, v5, v1 :: v_dual_fmac_f32 v48, v23, v10
	v_mul_f32_e32 v23, v7, v13
	v_dual_mul_f32 v35, v4, v1 :: v_dual_add_f32 v42, v45, v34
	v_mul_f32_e32 v37, v31, v3
	v_mul_f32_e32 v49, v30, v3
	s_delay_alu instid0(VALU_DEP_4)
	v_fma_f32 v6, v6, v12, -v23
	v_fmac_f32_e32 v25, v7, v12
	v_fma_f32 v7, v20, v14, -v27
	v_fmac_f32_e32 v29, v21, v14
	v_fma_f32 v4, v4, v0, -v33
	v_fmac_f32_e32 v35, v5, v0
	v_add_f32_e32 v20, v44, v28
	v_fma_f32 v5, v30, v2, -v37
	v_add_f32_e32 v21, v26, v24
	v_sub_f32_e32 v23, v34, v48
	v_dual_sub_f32 v27, v36, v39 :: v_dual_sub_f32 v54, v39, v48
	v_sub_f32_e32 v30, v28, v26
	v_dual_fmac_f32 v49, v31, v2 :: v_dual_sub_f32 v52, v48, v39
	v_add_f32_e32 v33, v28, v22
	v_sub_f32_e32 v37, v26, v28
	v_sub_f32_e32 v31, v22, v24
	v_add_f32_e32 v43, v36, v39
	v_dual_sub_f32 v28, v28, v22 :: v_dual_sub_f32 v51, v34, v36
	v_dual_sub_f32 v58, v29, v35 :: v_dual_add_f32 v53, v34, v48
	v_sub_f32_e32 v56, v4, v5
	v_sub_f32_e32 v34, v36, v34
	v_add_f32_e32 v20, v20, v26
	v_fma_f32 v46, -0.5, v21, v44
	v_dual_add_f32 v26, v37, v38 :: v_dual_add_f32 v21, v30, v31
	v_sub_f32_e32 v60, v7, v4
	v_add_f32_e32 v30, v42, v36
	v_fma_f32 v44, -0.5, v33, v44
	v_add_f32_e32 v31, v51, v52
	v_dual_add_f32 v33, v34, v54 :: v_dual_add_f32 v84, v25, v49
	v_add_f32_e32 v36, v7, v4
	v_fma_f32 v47, -0.5, v43, v45
	v_dual_fmac_f32 v45, -0.5, v53 :: v_dual_add_f32 v20, v20, v24
	v_dual_sub_f32 v37, v6, v7 :: v_dual_fmamk_f32 v42, v27, 0xbf737871, v44
	v_dual_sub_f32 v53, v5, v4 :: v_dual_add_f32 v54, v6, v5
	v_dual_add_f32 v59, v29, v35 :: v_dual_add_f32 v34, v40, v6
	v_dual_sub_f32 v51, v25, v49 :: v_dual_fmamk_f32 v38, v23, 0x3f737871, v46
	v_dual_sub_f32 v55, v7, v6 :: v_dual_fmac_f32 v46, 0xbf737871, v23
	v_dual_add_f32 v57, v41, v25 :: v_dual_fmac_f32 v44, 0x3f737871, v27
	v_sub_f32_e32 v6, v6, v5
	v_dual_sub_f32 v61, v25, v29 :: v_dual_add_f32 v24, v30, v39
	v_sub_f32_e32 v83, v49, v35
	v_dual_fmamk_f32 v39, v28, 0xbf737871, v47 :: v_dual_add_f32 v30, v37, v53
	v_fma_f32 v52, -0.5, v36, v40
	v_fmac_f32_e32 v40, -0.5, v54
	v_fma_f32 v53, -0.5, v59, v41
	v_dual_fmac_f32 v41, -0.5, v84 :: v_dual_fmac_f32 v42, 0x3f167918, v23
	v_dual_sub_f32 v25, v29, v25 :: v_dual_add_f32 v36, v20, v22
	v_dual_sub_f32 v85, v35, v49 :: v_dual_fmac_f32 v38, 0x3f167918, v27
	v_dual_fmac_f32 v47, 0x3f737871, v28 :: v_dual_fmamk_f32 v54, v51, 0x3f737871, v52
	v_dual_add_f32 v7, v34, v7 :: v_dual_add_f32 v34, v55, v56
	v_dual_add_f32 v29, v57, v29 :: v_dual_fmac_f32 v46, 0xbf167918, v27
	v_dual_add_f32 v59, v61, v83 :: v_dual_fmamk_f32 v56, v58, 0xbf737871, v40
	v_fmac_f32_e32 v52, 0xbf737871, v51
	v_dual_fmac_f32 v40, 0x3f737871, v58 :: v_dual_fmamk_f32 v43, v50, 0x3f737871, v45
	v_dual_add_f32 v4, v7, v4 :: v_dual_fmac_f32 v45, 0xbf737871, v50
	v_fmamk_f32 v55, v6, 0xbf737871, v53
	v_fmac_f32_e32 v53, 0x3f737871, v6
	v_fmamk_f32 v57, v60, 0x3f737871, v41
	v_fmac_f32_e32 v41, 0xbf737871, v60
	v_dual_add_f32 v25, v25, v85 :: v_dual_fmac_f32 v44, 0xbf167918, v23
	v_fmac_f32_e32 v39, 0xbf167918, v50
	v_dual_fmac_f32 v47, 0x3f167918, v50 :: v_dual_fmac_f32 v56, 0x3f167918, v51
	v_dual_fmac_f32 v43, 0xbf167918, v28 :: v_dual_fmac_f32 v52, 0xbf167918, v58
	;; [unrolled: 1-line block ×3, first 2 shown]
	v_dual_add_f32 v7, v29, v35 :: v_dual_fmac_f32 v46, 0x3e9e377a, v21
	v_dual_fmac_f32 v40, 0xbf167918, v51 :: v_dual_fmac_f32 v55, 0xbf167918, v60
	v_fmac_f32_e32 v53, 0x3f167918, v60
	s_delay_alu instid0(VALU_DEP_3)
	v_add_f32_e32 v49, v7, v49
	v_fmac_f32_e32 v57, 0xbf167918, v6
	v_fmac_f32_e32 v41, 0x3f167918, v6
	v_dual_add_f32 v37, v24, v48 :: v_dual_fmac_f32 v38, 0x3e9e377a, v21
	v_dual_fmac_f32 v44, 0x3e9e377a, v26 :: v_dual_fmac_f32 v47, 0x3e9e377a, v31
	v_dual_fmac_f32 v43, 0x3e9e377a, v33 :: v_dual_fmac_f32 v54, 0x3e9e377a, v30
	;; [unrolled: 1-line block ×3, first 2 shown]
	v_add_f32_e32 v48, v4, v5
	v_dual_fmac_f32 v42, 0x3e9e377a, v26 :: v_dual_fmac_f32 v39, 0x3e9e377a, v31
	v_dual_fmac_f32 v56, 0x3e9e377a, v34 :: v_dual_fmac_f32 v55, 0x3e9e377a, v59
	;; [unrolled: 1-line block ×3, first 2 shown]
	v_fmac_f32_e32 v57, 0x3e9e377a, v25
	v_fmac_f32_e32 v41, 0x3e9e377a, v25
	ds_store_2addr_b64 v103, v[36:37], v[38:39] offset1:3
	ds_store_2addr_b64 v103, v[42:43], v[44:45] offset0:6 offset1:9
	ds_store_b64 v103, v[46:47] offset:96
	s_and_saveexec_b32 s0, vcc_lo
	s_cbranch_execz .LBB0_5
; %bb.4:
	v_mad_u16 v4, v100, 15, v101
	s_delay_alu instid0(VALU_DEP_1) | instskip(NEXT) | instid1(VALU_DEP_1)
	v_and_b32_e32 v4, 0xffff, v4
	v_lshlrev_b32_e32 v4, 3, v4
	ds_store_2addr_b64 v4, v[48:49], v[54:55] offset1:3
	ds_store_2addr_b64 v4, v[56:57], v[40:41] offset0:6 offset1:9
	ds_store_b64 v4, v[52:53] offset:96
.LBB0_5:
	s_wait_alu 0xfffe
	s_or_b32 exec_lo, exec_lo, s0
	v_add_co_u32 v58, s0, s8, v98
	s_wait_alu 0xf1ff
	v_add_co_ci_u32_e64 v59, null, s9, 0, s0
	v_cmp_gt_u16_e64 s0, 0x87, v97
	global_wb scope:SCOPE_SE
	s_wait_dscnt 0x0
	s_barrier_signal -1
	s_barrier_wait -1
	global_inv scope:SCOPE_SE
                                        ; implicit-def: $vgpr60
	s_and_saveexec_b32 s1, s0
	s_cbranch_execz .LBB0_7
; %bb.6:
	v_add_nc_u32_e32 v4, 0x2000, v98
	v_add_nc_u32_e32 v6, 0x1000, v98
	ds_load_2addr_b64 v[50:53], v4 offset0:56 offset1:191
	v_add_nc_u32_e32 v5, 0x800, v98
	v_add_nc_u32_e32 v4, 0x1800, v98
	s_wait_dscnt 0x0
	v_mov_b32_e32 v40, v50
	ds_load_2addr_b64 v[36:39], v98 offset1:135
	ds_load_b64 v[60:61], v98 offset:10800
	ds_load_2addr_b64 v[42:45], v5 offset0:14 offset1:149
	ds_load_2addr_b64 v[46:49], v6 offset0:28 offset1:163
	;; [unrolled: 1-line block ×3, first 2 shown]
	v_mov_b32_e32 v41, v51
.LBB0_7:
	s_wait_alu 0xfffe
	s_or_b32 exec_lo, exec_lo, s1
	v_mul_lo_u16 v4, 0x89, v32
	s_delay_alu instid0(VALU_DEP_1) | instskip(NEXT) | instid1(VALU_DEP_1)
	v_lshrrev_b16 v102, 11, v4
	v_mul_lo_u16 v4, v102, 15
	v_and_b32_e32 v102, 0xffff, v102
	s_delay_alu instid0(VALU_DEP_2) | instskip(NEXT) | instid1(VALU_DEP_1)
	v_sub_nc_u16 v4, v97, v4
	v_and_b32_e32 v99, 0xff, v4
	s_delay_alu instid0(VALU_DEP_1)
	v_mad_co_u64_u32 v[32:33], null, 0x50, v99, s[10:11]
	s_clause 0x4
	global_load_b128 v[28:31], v[32:33], off offset:96
	global_load_b128 v[24:27], v[32:33], off offset:112
	global_load_b128 v[4:7], v[32:33], off offset:128
	global_load_b128 v[20:23], v[32:33], off offset:144
	global_load_b128 v[32:35], v[32:33], off offset:160
	global_wb scope:SCOPE_SE
	s_wait_loadcnt_dscnt 0x0
	s_barrier_signal -1
	s_barrier_wait -1
	global_inv scope:SCOPE_SE
	v_mul_f32_e32 v106, v38, v29
	v_dual_mul_f32 v83, v39, v29 :: v_dual_mul_f32 v104, v42, v31
	v_dual_mul_f32 v94, v46, v27 :: v_dual_mul_f32 v93, v48, v5
	;; [unrolled: 1-line block ×5, first 2 shown]
	v_dual_mul_f32 v115, v61, v35 :: v_dual_fmac_f32 v106, v39, v28
	s_delay_alu instid0(VALU_DEP_3)
	v_dual_mul_f32 v50, v60, v35 :: v_dual_fmac_f32 v95, v45, v24
	v_dual_fmac_f32 v104, v43, v30 :: v_dual_fmac_f32 v93, v49, v4
	v_dual_fmac_f32 v94, v47, v26 :: v_dual_fmac_f32 v51, v53, v32
	v_dual_mul_f32 v84, v43, v31 :: v_dual_mul_f32 v85, v45, v25
	v_dual_mul_f32 v112, v57, v21 :: v_dual_mul_f32 v87, v40, v23
	v_fma_f32 v110, v38, v28, -v83
	v_fma_f32 v105, v48, v4, -v96
	;; [unrolled: 1-line block ×3, first 2 shown]
	v_dual_fmac_f32 v50, v61, v34 :: v_dual_sub_f32 v117, v104, v51
	v_mul_f32_e32 v114, v53, v33
	v_dual_mul_f32 v88, v56, v21 :: v_dual_mul_f32 v113, v41, v23
	v_fma_f32 v109, v42, v30, -v84
	v_dual_fmac_f32 v87, v41, v22 :: v_dual_add_f32 v38, v110, v48
	v_sub_f32_e32 v115, v106, v50
	v_fma_f32 v49, v52, v32, -v114
	v_sub_f32_e32 v122, v110, v48
	v_fma_f32 v108, v44, v24, -v85
	v_fma_f32 v107, v46, v26, -v86
	v_mul_f32_e32 v125, 0xbf68dda4, v115
	v_fma_f32 v96, v54, v6, -v111
	v_dual_fmac_f32 v92, v55, v6 :: v_dual_add_f32 v39, v109, v49
	v_fma_f32 v55, v56, v20, -v112
	v_dual_fmac_f32 v88, v57, v20 :: v_dual_add_f32 v41, v104, v51
	v_fma_f32 v54, v40, v22, -v113
	v_dual_add_f32 v40, v106, v50 :: v_dual_add_f32 v43, v95, v87
	s_delay_alu instid0(VALU_DEP_3) | instskip(SKIP_1) | instid1(VALU_DEP_4)
	v_dual_sub_f32 v126, v109, v49 :: v_dual_add_f32 v45, v94, v88
	v_dual_sub_f32 v118, v95, v87 :: v_dual_mul_f32 v131, 0xbf68dda4, v122
	v_dual_sub_f32 v128, v108, v54 :: v_dual_sub_f32 v119, v93, v92
	s_delay_alu instid0(VALU_DEP_3)
	v_dual_sub_f32 v130, v107, v55 :: v_dual_mul_f32 v113, 0xbf68dda4, v126
	v_dual_sub_f32 v116, v94, v88 :: v_dual_mul_f32 v129, 0xbf4178ce, v126
	v_fmamk_f32 v85, v38, 0x3ed4b147, v125
	v_mul_f32_e32 v60, 0xbf0a6770, v115
	v_fma_f32 v86, 0x3ed4b147, v40, -v131
	v_mul_f32_e32 v127, 0x3e903f40, v128
	v_fma_f32 v136, 0x3ed4b147, v41, -v113
	v_fma_f32 v138, 0xbf27a4f4, v41, -v129
	s_delay_alu instid0(VALU_DEP_4) | instskip(SKIP_3) | instid1(VALU_DEP_4)
	v_dual_add_f32 v85, v36, v85 :: v_dual_add_f32 v86, v37, v86
	v_fmamk_f32 v83, v38, 0x3f575c64, v60
	v_mul_f32_e32 v114, 0xbf0a6770, v122
	v_dual_add_f32 v44, v107, v55 :: v_dual_mul_f32 v57, 0xbf68dda4, v117
	v_dual_mul_f32 v121, 0x3f7d64f0, v116 :: v_dual_add_f32 v86, v138, v86
	v_fma_f32 v146, 0xbf75a155, v43, -v127
	v_add_f32_e32 v83, v36, v83
	v_fma_f32 v84, 0x3f575c64, v40, -v114
	v_mul_f32_e32 v133, 0x3f7d64f0, v130
	v_dual_add_f32 v42, v108, v54 :: v_dual_add_f32 v47, v93, v92
	v_dual_sub_f32 v132, v105, v96 :: v_dual_mul_f32 v111, 0xbf4178ce, v130
	v_dual_mul_f32 v124, 0xbf4178ce, v117 :: v_dual_mul_f32 v53, 0xbf4178ce, v116
	v_dual_fmamk_f32 v135, v39, 0x3ed4b147, v57 :: v_dual_add_f32 v86, v146, v86
	v_mul_f32_e32 v56, 0xbf7d64f0, v118
	v_add_f32_e32 v84, v37, v84
	v_fma_f32 v148, 0xbe11bafb, v45, -v133
	s_delay_alu instid0(VALU_DEP_4) | instskip(SKIP_1) | instid1(VALU_DEP_3)
	v_dual_add_f32 v83, v135, v83 :: v_dual_add_f32 v46, v105, v96
	v_mul_f32_e32 v123, 0x3e903f40, v118
	v_dual_fmamk_f32 v139, v42, 0xbe11bafb, v56 :: v_dual_add_f32 v86, v148, v86
	v_mul_f32_e32 v134, 0x3f0a6770, v132
	v_fma_f32 v142, 0xbf27a4f4, v45, -v111
	v_fmamk_f32 v137, v39, 0xbf27a4f4, v124
	v_mul_f32_e32 v112, 0xbf7d64f0, v128
	v_dual_add_f32 v84, v136, v84 :: v_dual_add_f32 v83, v139, v83
	v_fma_f32 v136, 0x3f575c64, v47, -v134
	s_delay_alu instid0(VALU_DEP_4) | instskip(NEXT) | instid1(VALU_DEP_4)
	v_add_f32_e32 v85, v137, v85
	v_fma_f32 v140, 0xbe11bafb, v43, -v112
	v_fmamk_f32 v145, v42, 0xbf75a155, v123
	v_dual_mul_f32 v52, 0xbe903f40, v119 :: v_dual_mul_f32 v61, 0xbe903f40, v132
	v_fmamk_f32 v141, v44, 0xbf27a4f4, v53
	v_fmamk_f32 v147, v44, 0xbe11bafb, v121
	v_add_f32_e32 v84, v140, v84
	v_add_f32_e32 v86, v136, v86
	v_dual_mul_f32 v120, 0x3f0a6770, v119 :: v_dual_add_f32 v85, v145, v85
	v_fma_f32 v144, 0xbf75a155, v47, -v61
	s_delay_alu instid0(VALU_DEP_4) | instskip(SKIP_1) | instid1(VALU_DEP_4)
	v_dual_add_f32 v83, v141, v83 :: v_dual_add_f32 v84, v142, v84
	v_fmamk_f32 v143, v46, 0xbf75a155, v52
	v_fmamk_f32 v135, v46, 0x3f575c64, v120
	s_delay_alu instid0(VALU_DEP_3) | instskip(NEXT) | instid1(VALU_DEP_3)
	v_dual_add_f32 v85, v147, v85 :: v_dual_add_f32 v84, v144, v84
	v_add_f32_e32 v83, v143, v83
	s_delay_alu instid0(VALU_DEP_2)
	v_add_f32_e32 v85, v135, v85
	s_and_saveexec_b32 s1, s0
	s_cbranch_execz .LBB0_9
; %bb.8:
	v_mul_f32_e32 v149, 0xbe903f40, v122
	v_mul_f32_e32 v172, 0xbf0a6770, v128
	;; [unrolled: 1-line block ×3, first 2 shown]
	v_dual_mul_f32 v141, 0x3ed4b147, v38 :: v_dual_mul_f32 v142, 0x3ed4b147, v40
	v_dual_mul_f32 v165, 0xbf7d64f0, v132 :: v_dual_mul_f32 v170, 0xbf7d64f0, v119
	s_delay_alu instid0(VALU_DEP_4)
	v_fmamk_f32 v174, v43, 0x3f575c64, v172
	v_fmamk_f32 v135, v40, 0xbf75a155, v149
	v_mul_f32_e32 v154, 0x3f0a6770, v126
	v_mul_f32_e32 v163, 0x3f575c64, v47
	v_fma_f32 v137, 0xbf75a155, v38, -v161
	v_dual_mul_f32 v145, 0xbf27a4f4, v39 :: v_dual_mul_f32 v146, 0xbf27a4f4, v41
	v_add_f32_e32 v135, v37, v135
	v_fmamk_f32 v136, v41, 0x3f575c64, v154
	s_delay_alu instid0(VALU_DEP_4) | instskip(SKIP_2) | instid1(VALU_DEP_3)
	v_dual_mul_f32 v158, 0xbf4178ce, v128 :: v_dual_add_f32 v137, v36, v137
	v_mul_f32_e32 v167, 0xbf4178ce, v122
	v_add_f32_e32 v131, v131, v142
	v_dual_add_f32 v135, v136, v135 :: v_dual_fmamk_f32 v136, v43, 0xbf27a4f4, v158
	v_mul_f32_e32 v160, 0x3f575c64, v46
	v_dual_mul_f32 v147, 0xbe11bafb, v42 :: v_dual_mul_f32 v148, 0xbe11bafb, v43
	s_delay_alu instid0(VALU_DEP_4) | instskip(NEXT) | instid1(VALU_DEP_4)
	v_add_f32_e32 v131, v37, v131
	v_dual_add_f32 v135, v136, v135 :: v_dual_mul_f32 v162, 0x3f68dda4, v130
	v_add_f32_e32 v129, v129, v146
	v_dual_mul_f32 v150, 0xbf75a155, v42 :: v_dual_mul_f32 v151, 0xbf75a155, v43
	v_dual_mul_f32 v169, 0x3f7d64f0, v126 :: v_dual_mul_f32 v176, 0x3f7d64f0, v117
	s_delay_alu instid0(VALU_DEP_4) | instskip(SKIP_1) | instid1(VALU_DEP_4)
	v_fmamk_f32 v136, v45, 0x3ed4b147, v162
	v_dual_mul_f32 v173, 0xbf4178ce, v115 :: v_dual_sub_f32 v124, v145, v124
	v_add_f32_e32 v127, v127, v151
	s_delay_alu instid0(VALU_DEP_4) | instskip(NEXT) | instid1(VALU_DEP_4)
	v_fmamk_f32 v171, v41, 0xbe11bafb, v169
	v_dual_add_f32 v135, v136, v135 :: v_dual_fmamk_f32 v136, v47, 0xbe11bafb, v165
	v_mul_f32_e32 v175, 0xbe903f40, v130
	v_fma_f32 v177, 0xbe11bafb, v39, -v176
	v_dual_mul_f32 v139, 0x3f575c64, v38 :: v_dual_mul_f32 v140, 0x3f575c64, v40
	s_delay_alu instid0(VALU_DEP_4)
	v_add_f32_e32 v136, v136, v135
	v_fmamk_f32 v135, v40, 0xbf27a4f4, v167
	v_mul_f32_e32 v164, 0x3f0a6770, v117
	v_mul_f32_e32 v179, 0xbe903f40, v116
	;; [unrolled: 1-line block ×4, first 2 shown]
	v_add_f32_e32 v135, v37, v135
	v_fma_f32 v138, 0x3f575c64, v39, -v164
	v_mul_f32_e32 v168, 0x3f68dda4, v116
	v_dual_mul_f32 v143, 0x3ed4b147, v39 :: v_dual_mul_f32 v144, 0x3ed4b147, v41
	s_delay_alu instid0(VALU_DEP_4) | instskip(NEXT) | instid1(VALU_DEP_4)
	v_add_f32_e32 v171, v171, v135
	v_dual_add_f32 v137, v138, v137 :: v_dual_mul_f32 v166, 0xbf4178ce, v118
	v_dual_mul_f32 v152, 0xbf27a4f4, v44 :: v_dual_mul_f32 v153, 0xbf27a4f4, v45
	s_delay_alu instid0(VALU_DEP_4) | instskip(NEXT) | instid1(VALU_DEP_3)
	v_dual_add_f32 v113, v113, v144 :: v_dual_fmac_f32 v164, 0x3f575c64, v39
	v_fma_f32 v138, 0xbf27a4f4, v42, -v166
	v_sub_f32_e32 v57, v143, v57
	v_dual_mul_f32 v155, 0xbe11bafb, v44 :: v_dual_mul_f32 v156, 0xbe11bafb, v45
	v_add_f32_e32 v114, v114, v140
	s_delay_alu instid0(VALU_DEP_4) | instskip(SKIP_4) | instid1(VALU_DEP_4)
	v_add_f32_e32 v137, v138, v137
	v_fma_f32 v138, 0x3ed4b147, v44, -v168
	v_add_f32_e32 v106, v37, v106
	v_fmac_f32_e32 v166, 0xbf27a4f4, v42
	v_sub_f32_e32 v56, v147, v56
	v_dual_sub_f32 v60, v139, v60 :: v_dual_add_f32 v137, v138, v137
	v_fma_f32 v138, 0xbe11bafb, v46, -v170
	v_add_f32_e32 v104, v106, v104
	v_add_f32_e32 v106, v36, v110
	v_sub_f32_e32 v110, v160, v120
	s_delay_alu instid0(VALU_DEP_4) | instskip(SKIP_3) | instid1(VALU_DEP_3)
	v_dual_add_f32 v120, v37, v114 :: v_dual_add_f32 v135, v138, v137
	v_fma_f32 v137, 0xbf27a4f4, v38, -v173
	v_dual_add_f32 v95, v104, v95 :: v_dual_fmac_f32 v168, 0x3ed4b147, v44
	v_add_f32_e32 v104, v106, v109
	v_dual_fmac_f32 v170, 0xbe11bafb, v46 :: v_dual_add_f32 v137, v36, v137
	v_dual_add_f32 v138, v174, v171 :: v_dual_fmamk_f32 v171, v45, 0xbf75a155, v175
	v_mul_f32_e32 v174, 0x3f68dda4, v132
	v_mul_f32_e32 v159, 0xbf75a155, v47
	s_delay_alu instid0(VALU_DEP_4) | instskip(NEXT) | instid1(VALU_DEP_4)
	v_dual_add_f32 v137, v177, v137 :: v_dual_mul_f32 v178, 0xbf0a6770, v118
	v_add_f32_e32 v138, v171, v138
	s_delay_alu instid0(VALU_DEP_4) | instskip(SKIP_3) | instid1(VALU_DEP_4)
	v_fmamk_f32 v171, v47, 0x3ed4b147, v174
	v_mul_f32_e32 v132, 0xbf4178ce, v132
	v_add_f32_e32 v94, v95, v94
	v_fma_f32 v177, 0x3f575c64, v42, -v178
	v_dual_add_f32 v95, v104, v108 :: v_dual_add_f32 v138, v171, v138
	v_fmamk_f32 v171, v40, 0xbe11bafb, v122
	s_delay_alu instid0(VALU_DEP_3) | instskip(SKIP_1) | instid1(VALU_DEP_3)
	v_dual_add_f32 v104, v112, v148 :: v_dual_add_f32 v137, v177, v137
	v_fma_f32 v177, 0xbf75a155, v44, -v179
	v_dual_mul_f32 v126, 0x3e903f40, v126 :: v_dual_add_f32 v171, v37, v171
	v_add_f32_e32 v93, v94, v93
	v_fmac_f32_e32 v179, 0xbf75a155, v44
	s_delay_alu instid0(VALU_DEP_4) | instskip(NEXT) | instid1(VALU_DEP_4)
	v_dual_add_f32 v137, v177, v137 :: v_dual_mul_f32 v180, 0x3f68dda4, v119
	v_fmamk_f32 v181, v41, 0xbf75a155, v126
	v_mul_f32_e32 v128, 0x3f68dda4, v128
	v_add_f32_e32 v60, v36, v60
	v_add_f32_e32 v94, v95, v107
	v_fma_f32 v177, 0x3ed4b147, v46, -v180
	v_add_f32_e32 v115, v181, v171
	v_fmamk_f32 v171, v43, 0x3ed4b147, v128
	v_mul_f32_e32 v130, 0xbf0a6770, v130
	v_mul_f32_e32 v181, 0x3e903f40, v117
	v_add_f32_e32 v137, v177, v137
	v_fma_f32 v177, 0xbe11bafb, v38, -v182
	v_add_f32_e32 v115, v171, v115
	v_fmamk_f32 v117, v45, 0x3f575c64, v130
	v_mul_f32_e32 v118, 0x3f68dda4, v118
	s_delay_alu instid0(VALU_DEP_4) | instskip(SKIP_1) | instid1(VALU_DEP_4)
	v_dual_add_f32 v106, v113, v120 :: v_dual_add_f32 v171, v36, v177
	v_fma_f32 v177, 0xbf75a155, v39, -v181
	v_add_f32_e32 v115, v117, v115
	v_mul_f32_e32 v157, 0xbf75a155, v46
	v_fmamk_f32 v117, v47, 0xbf27a4f4, v132
	v_mul_f32_e32 v119, 0xbf4178ce, v119
	v_add_f32_e32 v142, v177, v171
	v_fma_f32 v171, 0x3ed4b147, v42, -v118
	v_dual_add_f32 v95, v104, v106 :: v_dual_fmac_f32 v176, 0xbe11bafb, v39
	v_add_f32_e32 v117, v117, v115
	v_sub_f32_e32 v115, v141, v125
	s_delay_alu instid0(VALU_DEP_4) | instskip(SKIP_2) | instid1(VALU_DEP_4)
	v_add_f32_e32 v125, v171, v142
	v_dual_mul_f32 v141, 0xbf0a6770, v116 :: v_dual_add_f32 v104, v111, v153
	v_add_f32_e32 v116, v129, v131
	v_add_f32_e32 v115, v36, v115
	;; [unrolled: 1-line block ×3, first 2 shown]
	s_delay_alu instid0(VALU_DEP_4) | instskip(SKIP_4) | instid1(VALU_DEP_4)
	v_fma_f32 v129, 0x3f575c64, v44, -v141
	v_add_f32_e32 v60, v93, v92
	v_add_f32_e32 v92, v94, v105
	;; [unrolled: 1-line block ×3, first 2 shown]
	v_dual_add_f32 v127, v133, v156 :: v_dual_add_f32 v56, v56, v57
	v_dual_sub_f32 v123, v150, v123 :: v_dual_add_f32 v60, v60, v88
	s_delay_alu instid0(VALU_DEP_4) | instskip(SKIP_4) | instid1(VALU_DEP_4)
	v_add_f32_e32 v88, v92, v96
	v_dual_sub_f32 v57, v152, v53 :: v_dual_fmac_f32 v178, 0x3f575c64, v42
	v_dual_add_f32 v115, v124, v115 :: v_dual_add_f32 v124, v129, v125
	v_add_f32_e32 v129, v134, v163
	v_dual_add_f32 v127, v127, v116 :: v_dual_add_f32 v60, v60, v87
	v_dual_add_f32 v55, v88, v55 :: v_dual_add_f32 v56, v57, v56
	s_delay_alu instid0(VALU_DEP_4) | instskip(NEXT) | instid1(VALU_DEP_2)
	v_dual_add_f32 v123, v123, v115 :: v_dual_sub_f32 v52, v157, v52
	v_dual_add_f32 v115, v129, v127 :: v_dual_add_f32 v54, v55, v54
	v_dual_add_f32 v93, v104, v95 :: v_dual_fmac_f32 v182, 0xbe11bafb, v38
	s_delay_alu instid0(VALU_DEP_3) | instskip(NEXT) | instid1(VALU_DEP_3)
	v_dual_sub_f32 v121, v155, v121 :: v_dual_add_f32 v52, v52, v56
	v_add_f32_e32 v49, v54, v49
	v_fma_f32 v56, 0xbe11bafb, v41, -v169
	v_fma_f32 v57, 0x3f575c64, v41, -v154
	v_fmac_f32_e32 v161, 0xbf75a155, v38
	v_fmac_f32_e32 v181, 0xbf75a155, v39
	v_dual_add_f32 v49, v49, v48 :: v_dual_fmac_f32 v180, 0x3ed4b147, v46
	v_fma_f32 v48, 0xbf27a4f4, v40, -v167
	v_add_f32_e32 v51, v60, v51
	v_add_f32_e32 v121, v121, v123
	v_fma_f32 v54, 0xbf27a4f4, v43, -v158
	v_fmac_f32_e32 v118, 0x3ed4b147, v42
	v_add_f32_e32 v48, v37, v48
	v_dual_add_f32 v50, v51, v50 :: v_dual_add_f32 v61, v61, v159
	v_fma_f32 v125, 0xbf27a4f4, v46, -v119
	s_delay_alu instid0(VALU_DEP_3) | instskip(SKIP_1) | instid1(VALU_DEP_4)
	v_dual_fmac_f32 v119, 0xbf27a4f4, v46 :: v_dual_add_f32 v48, v56, v48
	v_fma_f32 v56, 0x3f575c64, v43, -v172
	v_add_f32_e32 v53, v61, v93
	v_fma_f32 v61, 0xbf75a155, v40, -v149
	v_fmac_f32_e32 v173, 0xbf27a4f4, v38
	v_fma_f32 v40, 0xbe11bafb, v40, -v122
	v_add_f32_e32 v48, v56, v48
	v_fma_f32 v56, 0xbf75a155, v45, -v175
	v_add_f32_e32 v55, v37, v61
	;; [unrolled: 2-line block ×3, first 2 shown]
	v_fma_f32 v40, 0xbf75a155, v41, -v126
	s_delay_alu instid0(VALU_DEP_4) | instskip(SKIP_2) | instid1(VALU_DEP_4)
	v_dual_add_f32 v48, v56, v48 :: v_dual_add_f32 v51, v57, v55
	v_add_f32_e32 v55, v36, v161
	v_fmac_f32_e32 v141, 0x3f575c64, v44
	v_add_f32_e32 v37, v40, v37
	v_mul_u32_u24_e32 v41, 0xa5, v102
	v_add_f32_e32 v51, v54, v51
	v_fma_f32 v54, 0x3ed4b147, v45, -v162
	v_add_f32_e32 v55, v164, v55
	v_add_f32_e32 v37, v39, v37
	v_fma_f32 v39, 0x3f575c64, v45, -v130
	v_fma_f32 v40, 0x3ed4b147, v47, -v174
	v_add_f32_e32 v51, v54, v51
	v_fma_f32 v54, 0xbe11bafb, v47, -v165
	v_add_f32_e32 v57, v166, v55
	v_add_f32_e32 v39, v39, v37
	v_fma_f32 v42, 0xbf27a4f4, v47, -v132
	v_add_lshl_u32 v41, v41, v99, 3
	v_add_f32_e32 v55, v54, v51
	v_add_f32_e32 v51, v168, v57
	;; [unrolled: 1-line block ×11, first 2 shown]
	s_delay_alu instid0(VALU_DEP_4) | instskip(NEXT) | instid1(VALU_DEP_4)
	v_add_f32_e32 v38, v178, v38
	v_add_f32_e32 v36, v118, v36
	s_delay_alu instid0(VALU_DEP_1) | instskip(NEXT) | instid1(VALU_DEP_1)
	v_dual_add_f32 v38, v179, v38 :: v_dual_add_f32 v43, v141, v36
	v_add_f32_e32 v36, v180, v38
	s_delay_alu instid0(VALU_DEP_2)
	v_add_f32_e32 v38, v119, v43
	ds_store_2addr_b64 v41, v[49:50], v[52:53] offset1:15
	ds_store_2addr_b64 v41, v[114:115], v[116:117] offset0:30 offset1:45
	ds_store_2addr_b64 v41, v[137:138], v[135:136] offset0:60 offset1:75
	;; [unrolled: 1-line block ×4, first 2 shown]
	ds_store_b64 v41, v[83:84] offset:1200
.LBB0_9:
	s_wait_alu 0xfffe
	s_or_b32 exec_lo, exec_lo, s1
	v_and_b32_e32 v36, 0xffff, v62
	v_lshlrev_b32_e32 v61, 4, v97
	global_wb scope:SCOPE_SE
	s_wait_dscnt 0x0
	s_barrier_signal -1
	s_barrier_wait -1
	v_mul_u32_u24_e32 v36, 0x8d31, v36
	global_inv scope:SCOPE_SE
	s_add_nc_u64 s[8:9], s[8:9], 0x2e68
	v_lshrrev_b32_e32 v40, 16, v36
	s_delay_alu instid0(VALU_DEP_1) | instskip(NEXT) | instid1(VALU_DEP_1)
	v_sub_nc_u16 v36, v62, v40
	v_lshrrev_b16 v41, 1, v36
	global_load_b128 v[36:39], v61, s[10:11] offset:1296
	v_add_nc_u16 v40, v41, v40
	s_delay_alu instid0(VALU_DEP_1) | instskip(NEXT) | instid1(VALU_DEP_1)
	v_lshrrev_b16 v40, 7, v40
	v_mul_lo_u16 v40, 0xa5, v40
	s_delay_alu instid0(VALU_DEP_1) | instskip(NEXT) | instid1(VALU_DEP_1)
	v_sub_nc_u16 v56, v62, v40
	v_lshlrev_b16 v40, 4, v56
	s_delay_alu instid0(VALU_DEP_1) | instskip(NEXT) | instid1(VALU_DEP_1)
	v_and_b32_e32 v40, 0xffff, v40
	v_add_co_u32 v40, s1, s10, v40
	s_wait_alu 0xf1ff
	v_add_co_ci_u32_e64 v41, null, s11, 0, s1
	global_load_b128 v[40:43], v[40:41], off offset:1296
	v_add_nc_u32_e32 v60, 0x800, v98
	v_add_nc_u32_e32 v88, 0x1e00, v98
	;; [unrolled: 1-line block ×3, first 2 shown]
	ds_load_2addr_b64 v[44:47], v60 offset0:74 offset1:239
	ds_load_2addr_b64 v[48:51], v88 offset0:30 offset1:195
	;; [unrolled: 1-line block ×3, first 2 shown]
	s_wait_loadcnt_dscnt 0x100
	v_dual_mul_f32 v110, v52, v37 :: v_dual_lshlrev_b32 v63, 4, v63
	v_mul_f32_e32 v105, v47, v37
	v_dual_mul_f32 v106, v46, v37 :: v_dual_mul_f32 v107, v49, v39
	v_dual_mul_f32 v109, v53, v37 :: v_dual_mul_f32 v108, v48, v39
	s_delay_alu instid0(VALU_DEP_3) | instskip(SKIP_1) | instid1(VALU_DEP_4)
	v_fma_f32 v46, v46, v36, -v105
	v_and_b32_e32 v56, 0xffff, v56
	v_fmac_f32_e32 v106, v47, v36
	v_fma_f32 v47, v48, v38, -v107
	v_fma_f32 v48, v52, v36, -v109
	v_fmac_f32_e32 v110, v53, v36
	v_lshlrev_b32_e32 v104, 3, v56
	ds_load_2addr_b64 v[92:95], v98 offset1:165
	ds_load_b64 v[56:57], v98 offset:10560
	v_mul_f32_e32 v112, v50, v39
	v_dual_mul_f32 v111, v51, v39 :: v_dual_fmac_f32 v108, v49, v38
	global_wb scope:SCOPE_SE
	s_wait_loadcnt_dscnt 0x0
	s_barrier_signal -1
	s_barrier_wait -1
	v_fma_f32 v50, v50, v38, -v111
	global_inv scope:SCOPE_SE
	v_add_f32_e32 v109, v48, v50
	v_dual_sub_f32 v114, v48, v50 :: v_dual_add_f32 v107, v94, v48
	v_add_f32_e32 v113, v95, v110
	v_fmac_f32_e32 v112, v51, v38
	v_add_f32_e32 v49, v92, v46
	v_dual_add_f32 v51, v46, v47 :: v_dual_add_nc_u32 v96, 0x1e00, v104
	v_fma_f32 v94, -0.5, v109, v94
	s_delay_alu instid0(VALU_DEP_4) | instskip(SKIP_1) | instid1(VALU_DEP_4)
	v_sub_f32_e32 v111, v110, v112
	v_add_f32_e32 v110, v110, v112
	v_fma_f32 v48, -0.5, v51, v92
	s_delay_alu instid0(VALU_DEP_2) | instskip(SKIP_3) | instid1(VALU_DEP_3)
	v_fmac_f32_e32 v95, -0.5, v110
	v_dual_add_f32 v52, v93, v106 :: v_dual_add_f32 v105, v106, v108
	v_sub_f32_e32 v53, v106, v108
	v_sub_f32_e32 v106, v46, v47
	v_dual_add_f32 v46, v49, v47 :: v_dual_add_f32 v47, v52, v108
	s_delay_alu instid0(VALU_DEP_4)
	v_fma_f32 v49, -0.5, v105, v93
	v_mul_f32_e32 v93, v55, v41
	v_dual_add_f32 v50, v107, v50 :: v_dual_add_f32 v51, v113, v112
	v_dual_fmamk_f32 v52, v53, 0x3f5db3d7, v48 :: v_dual_mul_f32 v107, v56, v43
	v_dual_fmac_f32 v48, 0xbf5db3d7, v53 :: v_dual_mul_f32 v105, v57, v43
	v_fmamk_f32 v53, v106, 0xbf5db3d7, v49
	v_dual_fmac_f32 v49, 0x3f5db3d7, v106 :: v_dual_mul_f32 v106, v54, v41
	s_delay_alu instid0(VALU_DEP_4)
	v_dual_fmamk_f32 v92, v111, 0x3f5db3d7, v94 :: v_dual_fmac_f32 v107, v57, v42
	v_fmac_f32_e32 v94, 0xbf5db3d7, v111
	v_fma_f32 v54, v54, v40, -v93
	v_fmamk_f32 v93, v114, 0xbf5db3d7, v95
	v_fma_f32 v56, v56, v42, -v105
	v_dual_fmac_f32 v95, 0x3f5db3d7, v114 :: v_dual_fmac_f32 v106, v55, v40
	s_delay_alu instid0(VALU_DEP_4) | instskip(NEXT) | instid1(VALU_DEP_3)
	v_add_f32_e32 v57, v44, v54
	v_add_f32_e32 v55, v54, v56
	v_sub_f32_e32 v109, v54, v56
	s_delay_alu instid0(VALU_DEP_3) | instskip(SKIP_3) | instid1(VALU_DEP_4)
	v_dual_add_f32 v105, v106, v107 :: v_dual_add_f32 v54, v57, v56
	v_sub_f32_e32 v108, v106, v107
	v_add_f32_e32 v106, v45, v106
	v_fma_f32 v44, -0.5, v55, v44
	v_fmac_f32_e32 v45, -0.5, v105
	s_delay_alu instid0(VALU_DEP_2) | instskip(NEXT) | instid1(VALU_DEP_2)
	v_dual_add_f32 v55, v106, v107 :: v_dual_fmamk_f32 v56, v108, 0x3f5db3d7, v44
	v_dual_fmac_f32 v44, 0xbf5db3d7, v108 :: v_dual_fmamk_f32 v57, v109, 0xbf5db3d7, v45
	v_fmac_f32_e32 v45, 0x3f5db3d7, v109
	ds_store_2addr_b64 v98, v[46:47], v[52:53] offset1:165
	ds_store_2addr_b64 v60, v[48:49], v[50:51] offset0:74 offset1:239
	ds_store_2addr_b64 v87, v[92:93], v[94:95] offset0:20 offset1:185
	;; [unrolled: 1-line block ×3, first 2 shown]
	ds_store_b64 v104, v[44:45] offset:10560
	global_wb scope:SCOPE_SE
	s_wait_dscnt 0x0
	s_barrier_signal -1
	s_barrier_wait -1
	global_inv scope:SCOPE_SE
	global_load_b128 v[52:55], v61, s[10:11] offset:3936
	v_lshlrev_b32_e32 v44, 4, v62
	s_clause 0x1
	global_load_b128 v[48:51], v63, s[10:11] offset:3936
	global_load_b128 v[44:47], v44, s[10:11] offset:3936
	ds_load_2addr_b64 v[92:95], v60 offset0:74 offset1:239
	ds_load_2addr_b64 v[105:108], v88 offset0:30 offset1:195
	;; [unrolled: 1-line block ×3, first 2 shown]
	ds_load_b64 v[56:57], v98 offset:10560
	ds_load_2addr_b64 v[113:116], v98 offset1:165
	s_wait_loadcnt_dscnt 0x204
	v_dual_mul_f32 v62, v94, v53 :: v_dual_add_nc_u32 v131, 0x2400, v98
	v_mul_f32_e32 v61, v95, v53
	s_wait_dscnt 0x3
	v_mul_f32_e32 v63, v106, v55
	v_mul_f32_e32 v96, v105, v55
	s_wait_loadcnt_dscnt 0x102
	v_mul_f32_e32 v118, v109, v49
	v_dual_mul_f32 v117, v110, v49 :: v_dual_mul_f32 v120, v107, v51
	s_wait_loadcnt 0x0
	v_dual_mul_f32 v119, v108, v51 :: v_dual_mul_f32 v122, v111, v45
	v_dual_mul_f32 v121, v112, v45 :: v_dual_fmac_f32 v62, v95, v52
	s_wait_dscnt 0x1
	v_dual_mul_f32 v123, v57, v47 :: v_dual_fmac_f32 v96, v106, v54
	v_mul_f32_e32 v124, v56, v47
	v_fma_f32 v61, v94, v52, -v61
	v_fma_f32 v63, v105, v54, -v63
	;; [unrolled: 1-line block ×3, first 2 shown]
	v_fmac_f32_e32 v118, v110, v48
	v_fma_f32 v95, v107, v50, -v119
	s_delay_alu instid0(VALU_DEP_4)
	v_dual_fmac_f32 v120, v108, v50 :: v_dual_sub_f32 v109, v61, v63
	v_fma_f32 v105, v111, v44, -v121
	s_wait_dscnt 0x0
	v_dual_fmac_f32 v122, v112, v44 :: v_dual_add_f32 v107, v114, v62
	v_fma_f32 v106, v56, v46, -v123
	v_dual_fmac_f32 v124, v57, v46 :: v_dual_add_f32 v111, v94, v95
	v_dual_add_f32 v57, v61, v63 :: v_dual_sub_f32 v108, v62, v96
	v_dual_add_f32 v121, v92, v105 :: v_dual_add_f32 v62, v62, v96
	s_delay_alu instid0(VALU_DEP_4) | instskip(SKIP_2) | instid1(VALU_DEP_4)
	v_add_f32_e32 v123, v105, v106
	v_dual_add_f32 v56, v113, v61 :: v_dual_add_f32 v117, v116, v118
	v_dual_sub_f32 v112, v118, v120 :: v_dual_sub_f32 v127, v105, v106
	v_dual_add_f32 v118, v118, v120 :: v_dual_add_f32 v105, v121, v106
	v_dual_sub_f32 v125, v122, v124 :: v_dual_add_f32 v126, v93, v122
	v_fma_f32 v61, -0.5, v57, v113
	v_add_f32_e32 v122, v122, v124
	v_fma_f32 v62, -0.5, v62, v114
	v_dual_add_f32 v110, v115, v94 :: v_dual_sub_f32 v119, v94, v95
	v_dual_add_f32 v56, v56, v63 :: v_dual_add_f32 v57, v107, v96
	v_fma_f32 v115, -0.5, v111, v115
	v_fmac_f32_e32 v116, -0.5, v118
	v_fma_f32 v92, -0.5, v123, v92
	v_fmamk_f32 v107, v108, 0x3f5db3d7, v61
	v_fmac_f32_e32 v61, 0xbf5db3d7, v108
	v_dual_add_f32 v106, v126, v124 :: v_dual_fmac_f32 v93, -0.5, v122
	v_fmamk_f32 v108, v109, 0xbf5db3d7, v62
	v_dual_fmac_f32 v62, 0x3f5db3d7, v109 :: v_dual_fmamk_f32 v109, v112, 0x3f5db3d7, v115
	v_dual_add_f32 v94, v110, v95 :: v_dual_add_f32 v95, v117, v120
	v_dual_fmac_f32 v115, 0xbf5db3d7, v112 :: v_dual_fmamk_f32 v110, v119, 0xbf5db3d7, v116
	v_fmamk_f32 v111, v125, 0x3f5db3d7, v92
	v_fmamk_f32 v112, v127, 0xbf5db3d7, v93
	v_fmac_f32_e32 v116, 0x3f5db3d7, v119
	v_fmac_f32_e32 v92, 0xbf5db3d7, v125
	;; [unrolled: 1-line block ×3, first 2 shown]
	ds_store_b64 v98, v[107:108] offset:3960
	ds_store_b64 v98, v[61:62] offset:7920
	ds_store_2addr_b64 v98, v[56:57], v[94:95] offset1:165
	ds_store_b64 v98, v[105:106] offset:2640
	ds_store_2addr_b64 v87, v[109:110], v[111:112] offset0:20 offset1:185
	ds_store_2addr_b64 v131, v[115:116], v[92:93] offset0:3 offset1:168
	global_wb scope:SCOPE_SE
	s_wait_dscnt 0x0
	s_barrier_signal -1
	s_barrier_wait -1
	global_inv scope:SCOPE_SE
	global_load_b64 v[61:62], v[58:59], off offset:11880
	v_lshlrev_b32_e32 v56, 3, v97
	s_clause 0x7
	global_load_b64 v[113:114], v56, s[8:9] offset:1320
	global_load_b64 v[115:116], v56, s[8:9] offset:10560
	;; [unrolled: 1-line block ×8, first 2 shown]
	ds_load_2addr_b64 v[56:59], v98 offset1:165
	ds_load_b64 v[129:130], v98 offset:10560
	s_wait_loadcnt_dscnt 0x801
	v_mul_f32_e32 v92, v57, v62
	v_mul_f32_e32 v63, v56, v62
	s_delay_alu instid0(VALU_DEP_2) | instskip(NEXT) | instid1(VALU_DEP_2)
	v_fma_f32 v62, v56, v61, -v92
	v_fmac_f32_e32 v63, v57, v61
	s_wait_loadcnt 0x7
	v_mul_f32_e32 v57, v58, v114
	s_wait_loadcnt_dscnt 0x600
	v_dual_mul_f32 v61, v130, v116 :: v_dual_add_nc_u32 v132, 0x400, v98
	ds_store_b64 v98, v[62:63]
	v_fmac_f32_e32 v57, v59, v113
	ds_load_2addr_b64 v[92:95], v60 offset0:74 offset1:239
	ds_load_2addr_b64 v[105:108], v88 offset0:30 offset1:195
	;; [unrolled: 1-line block ×3, first 2 shown]
	v_dual_mul_f32 v62, v129, v116 :: v_dual_add_nc_u32 v63, 0xe00, v98
	v_mul_f32_e32 v56, v59, v114
	v_add_nc_u32_e32 v133, 0x1800, v98
	v_fma_f32 v61, v129, v115, -v61
	s_delay_alu instid0(VALU_DEP_4) | instskip(NEXT) | instid1(VALU_DEP_4)
	v_fmac_f32_e32 v62, v130, v115
	v_fma_f32 v56, v58, v113, -v56
	s_wait_loadcnt_dscnt 0x502
	v_mul_f32_e32 v58, v95, v118
	s_wait_loadcnt_dscnt 0x401
	v_dual_mul_f32 v59, v94, v118 :: v_dual_mul_f32 v96, v105, v120
	v_mul_f32_e32 v113, v106, v120
	s_wait_loadcnt_dscnt 0x300
	v_mul_f32_e32 v115, v110, v122
	s_delay_alu instid0(VALU_DEP_3)
	v_dual_mul_f32 v114, v109, v122 :: v_dual_fmac_f32 v59, v95, v117
	s_wait_loadcnt 0x2
	v_mul_f32_e32 v122, v108, v124
	v_mul_f32_e32 v116, v107, v124
	s_wait_loadcnt 0x1
	v_mul_f32_e32 v124, v93, v126
	v_mul_f32_e32 v118, v92, v126
	;; [unrolled: 3-line block ×3, first 2 shown]
	v_fma_f32 v58, v94, v117, -v58
	v_fma_f32 v95, v105, v119, -v113
	;; [unrolled: 1-line block ×3, first 2 shown]
	v_fmac_f32_e32 v114, v110, v121
	v_fma_f32 v117, v92, v125, -v124
	v_fmac_f32_e32 v118, v93, v125
	v_fmac_f32_e32 v96, v106, v119
	v_fma_f32 v119, v111, v127, -v126
	v_fmac_f32_e32 v120, v112, v127
	v_fma_f32 v115, v107, v123, -v122
	v_fmac_f32_e32 v116, v108, v123
	ds_store_2addr_b64 v63, v[58:59], v[113:114] offset0:47 offset1:212
	ds_store_2addr_b64 v132, v[56:57], v[117:118] offset0:37 offset1:202
	;; [unrolled: 1-line block ×4, first 2 shown]
	global_wb scope:SCOPE_SE
	s_wait_dscnt 0x0
	s_barrier_signal -1
	s_barrier_wait -1
	global_inv scope:SCOPE_SE
	ds_load_2addr_b64 v[56:59], v98 offset1:165
	ds_load_2addr_b64 v[60:63], v60 offset0:74 offset1:239
	ds_load_2addr_b64 v[92:95], v88 offset0:30 offset1:195
	;; [unrolled: 1-line block ×3, first 2 shown]
	ds_load_b64 v[87:88], v98 offset:10560
	global_wb scope:SCOPE_SE
	s_wait_dscnt 0x0
	s_barrier_signal -1
	s_barrier_wait -1
	global_inv scope:SCOPE_SE
	v_add_f32_e32 v111, v57, v63
	v_add_f32_e32 v109, v62, v92
	;; [unrolled: 1-line block ×3, first 2 shown]
	v_dual_add_f32 v96, v56, v62 :: v_dual_add_f32 v121, v61, v108
	v_sub_f32_e32 v122, v107, v87
	v_sub_f32_e32 v120, v108, v88
	v_add_f32_e32 v108, v108, v88
	v_dual_sub_f32 v110, v63, v93 :: v_dual_sub_f32 v113, v62, v92
	v_dual_add_f32 v115, v105, v94 :: v_dual_sub_f32 v116, v106, v95
	v_add_f32_e32 v114, v58, v105
	v_sub_f32_e32 v118, v105, v94
	v_add_f32_e32 v106, v106, v95
	v_add_f32_e32 v105, v60, v107
	v_dual_add_f32 v95, v117, v95 :: v_dual_add_f32 v62, v96, v92
	v_fma_f32 v92, -0.5, v109, v56
	v_dual_fmac_f32 v61, -0.5, v108 :: v_dual_add_f32 v112, v63, v93
	v_add_f32_e32 v119, v107, v87
	v_dual_add_f32 v63, v111, v93 :: v_dual_add_f32 v56, v105, v87
	s_delay_alu instid0(VALU_DEP_4) | instskip(NEXT) | instid1(VALU_DEP_4)
	v_fmamk_f32 v105, v110, 0xbf5db3d7, v92
	v_fma_f32 v93, -0.5, v112, v57
	v_fma_f32 v58, -0.5, v115, v58
	v_fmac_f32_e32 v59, -0.5, v106
	v_fma_f32 v60, -0.5, v119, v60
	v_fmac_f32_e32 v92, 0x3f5db3d7, v110
	v_fmamk_f32 v106, v113, 0x3f5db3d7, v93
	v_fmac_f32_e32 v93, 0xbf5db3d7, v113
	v_add_f32_e32 v57, v121, v88
	v_dual_fmamk_f32 v107, v116, 0xbf5db3d7, v58 :: v_dual_add_f32 v94, v114, v94
	v_fmamk_f32 v88, v122, 0x3f5db3d7, v61
	v_fmac_f32_e32 v61, 0xbf5db3d7, v122
	v_fmamk_f32 v87, v120, 0xbf5db3d7, v60
	v_fmamk_f32 v108, v118, 0x3f5db3d7, v59
	v_fmac_f32_e32 v58, 0x3f5db3d7, v116
	v_fmac_f32_e32 v59, 0xbf5db3d7, v118
	;; [unrolled: 1-line block ×3, first 2 shown]
	ds_store_2addr_b64 v91, v[62:63], v[105:106] offset1:1
	ds_store_b64 v91, v[92:93] offset:16
	ds_store_2addr_b64 v90, v[94:95], v[107:108] offset1:1
	ds_store_b64 v90, v[58:59] offset:16
	ds_store_2addr_b64 v89, v[56:57], v[87:88] offset1:1
	ds_store_b64 v89, v[60:61] offset:16
	global_wb scope:SCOPE_SE
	s_wait_dscnt 0x0
	s_barrier_signal -1
	s_barrier_wait -1
	global_inv scope:SCOPE_SE
	ds_load_b64 v[62:63], v98
	ds_load_b64 v[95:96], v98 offset:2376
	ds_load_b64 v[93:94], v98 offset:4752
	;; [unrolled: 1-line block ×4, first 2 shown]
	s_and_saveexec_b32 s1, vcc_lo
	s_cbranch_execz .LBB0_11
; %bb.10:
	ds_load_b64 v[58:59], v98 offset:1320
	ds_load_b64 v[56:57], v98 offset:3696
	;; [unrolled: 1-line block ×5, first 2 shown]
.LBB0_11:
	s_wait_alu 0xfffe
	s_or_b32 exec_lo, exec_lo, s1
	s_wait_dscnt 0x2
	v_dual_mul_f32 v105, v17, v96 :: v_dual_mul_f32 v106, v19, v94
	v_mul_f32_e32 v17, v17, v95
	global_wb scope:SCOPE_SE
	s_wait_dscnt 0x0
	s_barrier_signal -1
	v_dual_fmac_f32 v105, v16, v95 :: v_dual_fmac_f32 v106, v18, v93
	v_fma_f32 v16, v16, v96, -v17
	v_mul_f32_e32 v17, v9, v92
	v_mul_f32_e32 v19, v19, v93
	v_mul_f32_e32 v95, v11, v90
	s_barrier_wait -1
	global_inv scope:SCOPE_SE
	v_fmac_f32_e32 v17, v8, v91
	v_mul_f32_e32 v9, v9, v91
	v_fma_f32 v18, v18, v94, -v19
	v_mul_f32_e32 v91, v15, v88
	s_delay_alu instid0(VALU_DEP_3)
	v_fma_f32 v19, v8, v92, -v9
	v_mul_f32_e32 v8, v11, v89
	v_fmac_f32_e32 v95, v10, v89
	v_mul_f32_e32 v89, v13, v57
	v_mul_f32_e32 v9, v13, v56
	;; [unrolled: 1-line block ×3, first 2 shown]
	v_fma_f32 v15, v10, v90, -v8
	s_delay_alu instid0(VALU_DEP_4) | instskip(NEXT) | instid1(VALU_DEP_4)
	v_dual_add_f32 v8, v106, v17 :: v_dual_fmac_f32 v89, v12, v56
	v_fma_f32 v56, v12, v57, -v9
	s_delay_alu instid0(VALU_DEP_4) | instskip(NEXT) | instid1(VALU_DEP_4)
	v_fma_f32 v57, v14, v88, -v11
	v_sub_f32_e32 v11, v16, v15
	s_delay_alu instid0(VALU_DEP_4) | instskip(SKIP_3) | instid1(VALU_DEP_4)
	v_fma_f32 v12, -0.5, v8, v62
	v_sub_f32_e32 v8, v105, v106
	v_dual_add_f32 v13, v105, v95 :: v_dual_mul_f32 v88, v3, v86
	v_mul_f32_e32 v3, v3, v85
	v_dual_fmamk_f32 v10, v11, 0xbf737871, v12 :: v_dual_add_f32 v9, v62, v105
	s_delay_alu instid0(VALU_DEP_3)
	v_fma_f32 v62, -0.5, v13, v62
	v_fmac_f32_e32 v91, v14, v87
	v_mul_f32_e32 v87, v1, v61
	v_dual_mul_f32 v1, v1, v60 :: v_dual_fmac_f32 v88, v2, v85
	v_fma_f32 v85, v2, v86, -v3
	v_sub_f32_e32 v2, v17, v95
	v_fmac_f32_e32 v12, 0x3f737871, v11
	s_delay_alu instid0(VALU_DEP_4) | instskip(SKIP_4) | instid1(VALU_DEP_3)
	v_fma_f32 v90, v0, v61, -v1
	v_sub_f32_e32 v1, v18, v19
	v_dual_fmac_f32 v87, v0, v60 :: v_dual_add_f32 v0, v9, v106
	v_sub_f32_e32 v9, v95, v17
	v_dual_add_f32 v3, v63, v16 :: v_dual_sub_f32 v14, v106, v17
	v_dual_sub_f32 v61, v15, v19 :: v_dual_add_f32 v0, v0, v17
	s_delay_alu instid0(VALU_DEP_3) | instskip(NEXT) | instid1(VALU_DEP_2)
	v_dual_add_f32 v9, v8, v9 :: v_dual_sub_f32 v86, v89, v88
	v_add_f32_e32 v8, v0, v95
	v_sub_f32_e32 v0, v106, v105
	s_delay_alu instid0(VALU_DEP_1) | instskip(SKIP_4) | instid1(VALU_DEP_4)
	v_add_f32_e32 v0, v0, v2
	v_fmamk_f32 v60, v1, 0x3f737871, v62
	v_fmac_f32_e32 v62, 0xbf737871, v1
	v_fmac_f32_e32 v10, 0xbf167918, v1
	v_dual_fmac_f32 v12, 0x3f167918, v1 :: v_dual_sub_f32 v17, v16, v18
	v_dual_fmac_f32 v60, 0xbf167918, v11 :: v_dual_add_f32 v1, v3, v18
	s_delay_alu instid0(VALU_DEP_4) | instskip(SKIP_1) | instid1(VALU_DEP_3)
	v_fmac_f32_e32 v62, 0x3f167918, v11
	v_add_f32_e32 v13, v18, v19
	v_dual_add_f32 v3, v16, v15 :: v_dual_fmac_f32 v60, 0x3e9e377a, v0
	v_fmac_f32_e32 v10, 0x3e9e377a, v9
	s_delay_alu instid0(VALU_DEP_4)
	v_fmac_f32_e32 v62, 0x3e9e377a, v0
	v_add_f32_e32 v0, v17, v61
	v_add_f32_e32 v1, v1, v19
	v_fma_f32 v13, -0.5, v13, v63
	v_sub_f32_e32 v2, v105, v95
	v_dual_fmac_f32 v12, 0x3e9e377a, v9 :: v_dual_add_f32 v17, v89, v88
	v_fmac_f32_e32 v63, -0.5, v3
	v_add_f32_e32 v9, v1, v15
	v_sub_f32_e32 v1, v18, v16
	v_sub_f32_e32 v3, v19, v15
	v_add_f32_e32 v15, v91, v87
	v_sub_f32_e32 v16, v88, v87
	s_delay_alu instid0(VALU_DEP_3) | instskip(NEXT) | instid1(VALU_DEP_3)
	v_add_f32_e32 v1, v1, v3
	v_fma_f32 v18, -0.5, v15, v58
	v_sub_f32_e32 v15, v56, v85
	v_add_f32_e32 v3, v89, v58
	v_fmamk_f32 v11, v2, 0x3f737871, v13
	v_dual_fmac_f32 v13, 0xbf737871, v2 :: v_dual_fmac_f32 v58, -0.5, v17
	v_fmamk_f32 v61, v14, 0xbf737871, v63
	v_fmac_f32_e32 v63, 0x3f737871, v14
	v_sub_f32_e32 v17, v87, v88
	s_delay_alu instid0(VALU_DEP_3) | instskip(NEXT) | instid1(VALU_DEP_3)
	v_fmac_f32_e32 v61, 0x3f167918, v2
	v_dual_fmac_f32 v63, 0xbf167918, v2 :: v_dual_add_f32 v2, v91, v3
	v_fmac_f32_e32 v11, 0x3f167918, v14
	v_sub_f32_e32 v3, v57, v90
	v_dual_fmac_f32 v13, 0xbf167918, v14 :: v_dual_sub_f32 v14, v89, v91
	s_delay_alu instid0(VALU_DEP_3) | instskip(NEXT) | instid1(VALU_DEP_2)
	v_dual_add_f32 v2, v87, v2 :: v_dual_fmac_f32 v11, 0x3e9e377a, v0
	v_fmac_f32_e32 v13, 0x3e9e377a, v0
	v_fmamk_f32 v0, v15, 0xbf737871, v18
	v_fmac_f32_e32 v18, 0x3f737871, v15
	v_add_f32_e32 v16, v14, v16
	v_add_f32_e32 v14, v88, v2
	v_fmamk_f32 v2, v3, 0x3f737871, v58
	v_fmac_f32_e32 v0, 0xbf167918, v3
	v_fmac_f32_e32 v18, 0x3f167918, v3
	v_fmac_f32_e32 v58, 0xbf737871, v3
	v_fmac_f32_e32 v63, 0x3e9e377a, v1
	v_fmac_f32_e32 v2, 0xbf167918, v15
	v_fmac_f32_e32 v0, 0x3e9e377a, v16
	v_fmac_f32_e32 v18, 0x3e9e377a, v16
	v_dual_sub_f32 v16, v91, v89 :: v_dual_add_f32 v3, v56, v59
	s_delay_alu instid0(VALU_DEP_1) | instskip(SKIP_1) | instid1(VALU_DEP_2)
	v_dual_add_f32 v16, v16, v17 :: v_dual_add_f32 v3, v57, v3
	v_sub_f32_e32 v17, v91, v87
	v_dual_sub_f32 v87, v85, v90 :: v_dual_fmac_f32 v2, 0x3e9e377a, v16
	v_fmac_f32_e32 v58, 0x3f167918, v15
	v_fmac_f32_e32 v61, 0x3e9e377a, v1
	v_add_f32_e32 v1, v57, v90
	s_delay_alu instid0(VALU_DEP_3) | instskip(SKIP_1) | instid1(VALU_DEP_3)
	v_dual_add_f32 v15, v56, v85 :: v_dual_fmac_f32 v58, 0x3e9e377a, v16
	v_add_f32_e32 v16, v90, v3
	v_fma_f32 v19, -0.5, v1, v59
	s_delay_alu instid0(VALU_DEP_3) | instskip(SKIP_2) | instid1(VALU_DEP_4)
	v_fmac_f32_e32 v59, -0.5, v15
	v_dual_sub_f32 v15, v56, v57 :: v_dual_sub_f32 v56, v57, v56
	v_sub_f32_e32 v57, v90, v85
	v_fmamk_f32 v1, v86, 0x3f737871, v19
	v_fmac_f32_e32 v19, 0xbf737871, v86
	v_fmamk_f32 v3, v17, 0xbf737871, v59
	v_fmac_f32_e32 v59, 0x3f737871, v17
	v_add_f32_e32 v87, v15, v87
	v_fmac_f32_e32 v1, 0x3f167918, v17
	v_fmac_f32_e32 v19, 0xbf167918, v17
	;; [unrolled: 1-line block ×3, first 2 shown]
	v_add_f32_e32 v17, v56, v57
	v_fmac_f32_e32 v59, 0xbf167918, v86
	v_add_f32_e32 v15, v85, v16
	v_fmac_f32_e32 v1, 0x3e9e377a, v87
	v_fmac_f32_e32 v19, 0x3e9e377a, v87
	;; [unrolled: 1-line block ×4, first 2 shown]
	ds_store_2addr_b64 v103, v[8:9], v[10:11] offset1:3
	ds_store_2addr_b64 v103, v[60:61], v[62:63] offset0:6 offset1:9
	ds_store_b64 v103, v[12:13] offset:96
	s_and_saveexec_b32 s1, vcc_lo
	s_cbranch_execz .LBB0_13
; %bb.12:
	v_mad_u16 v16, v100, 15, v101
	s_delay_alu instid0(VALU_DEP_1) | instskip(NEXT) | instid1(VALU_DEP_1)
	v_and_b32_e32 v16, 0xffff, v16
	v_lshlrev_b32_e32 v16, 3, v16
	ds_store_2addr_b64 v16, v[14:15], v[0:1] offset1:3
	ds_store_2addr_b64 v16, v[2:3], v[58:59] offset0:6 offset1:9
	ds_store_b64 v16, v[18:19] offset:96
.LBB0_13:
	s_wait_alu 0xfffe
	s_or_b32 exec_lo, exec_lo, s1
	global_wb scope:SCOPE_SE
	s_wait_dscnt 0x0
	s_barrier_signal -1
	s_barrier_wait -1
	global_inv scope:SCOPE_SE
	s_and_saveexec_b32 s1, s0
	s_cbranch_execz .LBB0_15
; %bb.14:
	v_add_nc_u32_e32 v0, 0x2000, v98
	v_add_nc_u32_e32 v2, 0x1000, v98
	ds_load_2addr_b64 v[16:19], v0 offset0:56 offset1:191
	v_add_nc_u32_e32 v1, 0x800, v98
	v_add_nc_u32_e32 v0, 0x1800, v98
	s_wait_dscnt 0x0
	v_mov_b32_e32 v58, v16
	ds_load_2addr_b64 v[8:11], v98 offset1:135
	ds_load_b64 v[83:84], v98 offset:10800
	ds_load_2addr_b64 v[60:63], v1 offset0:14 offset1:149
	ds_load_2addr_b64 v[12:15], v2 offset0:28 offset1:163
	;; [unrolled: 1-line block ×3, first 2 shown]
	v_mov_b32_e32 v59, v17
.LBB0_15:
	s_wait_alu 0xfffe
	s_or_b32 exec_lo, exec_lo, s1
	global_wb scope:SCOPE_SE
	s_wait_dscnt 0x0
	s_barrier_signal -1
	s_barrier_wait -1
	global_inv scope:SCOPE_SE
	s_and_saveexec_b32 s1, s0
	s_cbranch_execz .LBB0_17
; %bb.16:
	v_dual_mul_f32 v16, v35, v83 :: v_dual_mul_f32 v17, v29, v10
	v_dual_mul_f32 v29, v29, v11 :: v_dual_mul_f32 v56, v31, v60
	s_delay_alu instid0(VALU_DEP_2) | instskip(NEXT) | instid1(VALU_DEP_3)
	v_fma_f32 v16, v34, v84, -v16
	v_fma_f32 v11, v28, v11, -v17
	v_mul_f32_e32 v35, v35, v84
	s_delay_alu instid0(VALU_DEP_4) | instskip(NEXT) | instid1(VALU_DEP_3)
	v_fmac_f32_e32 v29, v28, v10
	v_add_f32_e32 v28, v16, v11
	s_delay_alu instid0(VALU_DEP_3) | instskip(SKIP_2) | instid1(VALU_DEP_3)
	v_fmac_f32_e32 v35, v34, v83
	v_mul_f32_e32 v31, v31, v61
	v_fma_f32 v34, v30, v61, -v56
	v_dual_mul_f32 v93, 0xbf27a4f4, v28 :: v_dual_sub_f32 v56, v29, v35
	s_delay_alu instid0(VALU_DEP_3)
	v_dual_fmac_f32 v31, v30, v60 :: v_dual_mul_f32 v60, v25, v62
	v_mul_f32_e32 v17, v33, v18
	v_mul_f32_e32 v25, v25, v63
	;; [unrolled: 1-line block ×4, first 2 shown]
	v_fma_f32 v60, v24, v63, -v60
	v_mul_f32_e32 v63, v27, v12
	v_fma_f32 v17, v32, v19, -v17
	v_mul_f32_e32 v19, v33, v19
	v_dual_fmac_f32 v25, v24, v62 :: v_dual_mul_f32 v62, v7, v1
	s_delay_alu instid0(VALU_DEP_4) | instskip(SKIP_2) | instid1(VALU_DEP_4)
	v_fma_f32 v24, v26, v13, -v63
	v_mul_f32_e32 v13, v27, v13
	v_sub_f32_e32 v86, v34, v17
	v_fmac_f32_e32 v62, v6, v0
	s_delay_alu instid0(VALU_DEP_3) | instskip(SKIP_3) | instid1(VALU_DEP_3)
	v_fmac_f32_e32 v13, v26, v12
	v_dual_mul_f32 v12, v7, v0 :: v_dual_fmac_f32 v19, v32, v18
	v_mul_f32_e32 v32, v23, v58
	v_dual_mul_f32 v23, v23, v59 :: v_dual_mul_f32 v110, 0x3f7d64f0, v86
	v_fma_f32 v12, v6, v1, -v12
	v_mul_f32_e32 v120, 0x3e903f40, v86
	s_delay_alu instid0(VALU_DEP_4) | instskip(SKIP_3) | instid1(VALU_DEP_4)
	v_fma_f32 v32, v22, v59, -v32
	v_mul_f32_e32 v59, v21, v2
	v_fmac_f32_e32 v23, v22, v58
	v_dual_mul_f32 v21, v21, v3 :: v_dual_mul_f32 v88, 0x3f0a6770, v86
	v_add_f32_e32 v83, v32, v60
	s_delay_alu instid0(VALU_DEP_4) | instskip(NEXT) | instid1(VALU_DEP_4)
	v_fma_f32 v22, v20, v3, -v59
	v_dual_sub_f32 v58, v25, v23 :: v_dual_mul_f32 v33, 0xbf75a155, v28
	v_sub_f32_e32 v10, v31, v19
	v_add_f32_e32 v87, v19, v31
	s_delay_alu instid0(VALU_DEP_4) | instskip(NEXT) | instid1(VALU_DEP_4)
	v_add_f32_e32 v59, v22, v24
	v_dual_add_f32 v57, v17, v34 :: v_dual_fmamk_f32 v18, v56, 0x3e903f40, v33
	s_delay_alu instid0(VALU_DEP_3) | instskip(NEXT) | instid1(VALU_DEP_2)
	v_dual_sub_f32 v94, v24, v22 :: v_dual_fmamk_f32 v1, v87, 0x3f575c64, v88
	v_dual_fmac_f32 v21, v20, v2 :: v_dual_mul_f32 v30, 0x3f575c64, v57
	v_mul_f32_e32 v20, v5, v14
	s_delay_alu instid0(VALU_DEP_4) | instskip(SKIP_1) | instid1(VALU_DEP_4)
	v_dual_add_f32 v18, v9, v18 :: v_dual_mul_f32 v27, 0xbf27a4f4, v83
	v_add_f32_e32 v63, v35, v29
	v_fmamk_f32 v61, v10, 0xbf0a6770, v30
	s_delay_alu instid0(VALU_DEP_4) | instskip(SKIP_2) | instid1(VALU_DEP_4)
	v_fma_f32 v20, v4, v15, -v20
	v_mul_f32_e32 v15, v5, v15
	v_mul_f32_e32 v103, 0x3f575c64, v83
	v_dual_mul_f32 v107, 0xbf75a155, v59 :: v_dual_add_f32 v2, v61, v18
	s_delay_alu instid0(VALU_DEP_3) | instskip(SKIP_3) | instid1(VALU_DEP_4)
	v_dual_mul_f32 v18, 0x3ed4b147, v59 :: v_dual_fmac_f32 v15, v4, v14
	v_sub_f32_e32 v14, v60, v32
	v_sub_f32_e32 v61, v11, v16
	;; [unrolled: 1-line block ×3, first 2 shown]
	v_dual_mul_f32 v123, 0xbf27a4f4, v57 :: v_dual_sub_f32 v90, v15, v62
	s_delay_alu instid0(VALU_DEP_4) | instskip(NEXT) | instid1(VALU_DEP_4)
	v_mul_f32_e32 v92, 0xbf4178ce, v14
	v_mul_f32_e32 v84, 0xbe903f40, v61
	s_delay_alu instid0(VALU_DEP_4) | instskip(NEXT) | instid1(VALU_DEP_4)
	v_mul_f32_e32 v106, 0xbf7d64f0, v101
	v_fmamk_f32 v125, v10, 0x3f4178ce, v123
	v_mul_f32_e32 v117, 0x3f575c64, v59
	v_dual_mul_f32 v128, 0xbe11bafb, v59 :: v_dual_add_f32 v29, v8, v29
	v_fmamk_f32 v0, v63, 0xbf75a155, v84
	v_fmamk_f32 v3, v58, 0x3f4178ce, v27
	v_dual_add_f32 v91, v23, v25 :: v_dual_mul_f32 v100, 0x3f68dda4, v94
	v_add_f32_e32 v85, v12, v20
	s_delay_alu instid0(VALU_DEP_4) | instskip(NEXT) | instid1(VALU_DEP_4)
	v_add_f32_e32 v0, v8, v0
	v_add_f32_e32 v2, v3, v2
	s_delay_alu instid0(VALU_DEP_4) | instskip(SKIP_1) | instid1(VALU_DEP_4)
	v_fmamk_f32 v4, v91, 0xbf27a4f4, v92
	v_fmac_f32_e32 v30, 0x3f0a6770, v10
	v_dual_mul_f32 v89, 0xbe11bafb, v85 :: v_dual_add_f32 v0, v1, v0
	v_sub_f32_e32 v26, v13, v21
	v_dual_add_f32 v96, v21, v13 :: v_dual_add_f32 v105, v62, v15
	s_delay_alu instid0(VALU_DEP_3) | instskip(NEXT) | instid1(VALU_DEP_3)
	v_dual_mul_f32 v95, 0xbe11bafb, v57 :: v_dual_add_f32 v0, v4, v0
	v_fmamk_f32 v3, v26, 0xbf68dda4, v18
	s_delay_alu instid0(VALU_DEP_3) | instskip(SKIP_2) | instid1(VALU_DEP_4)
	v_fmamk_f32 v4, v96, 0x3ed4b147, v100
	v_mul_f32_e32 v59, 0xbf27a4f4, v59
	v_mul_f32_e32 v108, 0xbf4178ce, v61
	v_dual_mul_f32 v113, 0xbf75a155, v57 :: v_dual_add_f32 v2, v3, v2
	s_delay_alu instid0(VALU_DEP_4) | instskip(SKIP_4) | instid1(VALU_DEP_4)
	v_add_f32_e32 v0, v4, v0
	v_fmamk_f32 v4, v105, 0xbe11bafb, v106
	v_fmamk_f32 v3, v90, 0x3f7d64f0, v89
	v_mul_f32_e32 v119, 0xbf27a4f4, v85
	v_add_f32_e32 v29, v31, v29
	v_dual_mul_f32 v131, 0xbf4178ce, v86 :: v_dual_add_f32 v0, v4, v0
	s_delay_alu instid0(VALU_DEP_4)
	v_dual_add_f32 v1, v3, v2 :: v_dual_fmamk_f32 v2, v56, 0x3f4178ce, v93
	v_fmamk_f32 v4, v63, 0xbf27a4f4, v108
	v_fmamk_f32 v3, v10, 0xbf7d64f0, v95
	;; [unrolled: 1-line block ×3, first 2 shown]
	v_fmac_f32_e32 v27, 0xbf4178ce, v58
	v_add_f32_e32 v2, v9, v2
	v_dual_add_f32 v4, v8, v4 :: v_dual_fmamk_f32 v137, v26, 0x3f4178ce, v59
	v_mul_f32_e32 v130, 0x3f575c64, v85
	v_mul_f32_e32 v112, 0xbf0a6770, v14
	s_delay_alu instid0(VALU_DEP_4) | instskip(NEXT) | instid1(VALU_DEP_4)
	v_dual_add_f32 v2, v3, v2 :: v_dual_fmamk_f32 v3, v58, 0x3f0a6770, v103
	v_add_f32_e32 v4, v5, v4
	v_mul_f32_e32 v126, 0xbf75a155, v83
	s_delay_alu instid0(VALU_DEP_4)
	v_fmamk_f32 v5, v91, 0x3f575c64, v112
	v_mul_f32_e32 v114, 0xbe903f40, v94
	v_dual_add_f32 v2, v3, v2 :: v_dual_fmamk_f32 v3, v26, 0x3e903f40, v107
	v_fmamk_f32 v133, v87, 0xbf27a4f4, v131
	v_fmamk_f32 v6, v10, 0xbe903f40, v113
	v_dual_mul_f32 v109, 0x3ed4b147, v85 :: v_dual_add_f32 v4, v5, v4
	s_delay_alu instid0(VALU_DEP_4) | instskip(SKIP_1) | instid1(VALU_DEP_3)
	v_dual_add_f32 v2, v3, v2 :: v_dual_fmamk_f32 v5, v96, 0xbf75a155, v114
	v_fmamk_f32 v7, v26, 0x3f0a6770, v117
	v_fmamk_f32 v3, v90, 0xbf68dda4, v109
	v_mul_f32_e32 v115, 0x3ed4b147, v83
	v_mul_f32_e32 v116, 0x3f68dda4, v101
	v_dual_add_f32 v4, v5, v4 :: v_dual_mul_f32 v129, 0xbf68dda4, v61
	s_delay_alu instid0(VALU_DEP_4) | instskip(NEXT) | instid1(VALU_DEP_3)
	v_dual_add_f32 v3, v3, v2 :: v_dual_fmamk_f32 v2, v56, 0x3f7d64f0, v111
	v_fmamk_f32 v5, v105, 0x3ed4b147, v116
	v_mul_f32_e32 v118, 0xbf7d64f0, v61
	v_add_f32_e32 v11, v11, v9
	s_delay_alu instid0(VALU_DEP_4) | instskip(SKIP_1) | instid1(VALU_DEP_3)
	v_dual_mul_f32 v57, 0x3ed4b147, v57 :: v_dual_add_f32 v2, v9, v2
	v_mul_f32_e32 v122, 0x3f68dda4, v14
	v_dual_mul_f32 v124, 0xbf0a6770, v94 :: v_dual_add_f32 v11, v34, v11
	v_mul_f32_e32 v134, 0x3e903f40, v14
	s_delay_alu instid0(VALU_DEP_4) | instskip(SKIP_3) | instid1(VALU_DEP_3)
	v_add_f32_e32 v2, v6, v2
	v_fmamk_f32 v6, v58, 0xbf68dda4, v115
	v_fmamk_f32 v135, v10, 0x3f68dda4, v57
	v_dual_mul_f32 v34, 0xbf0a6770, v61 :: v_dual_add_f32 v11, v60, v11
	v_dual_mul_f32 v127, 0xbf4178ce, v101 :: v_dual_add_f32 v6, v6, v2
	v_add_f32_e32 v2, v5, v4
	s_delay_alu instid0(VALU_DEP_3) | instskip(SKIP_1) | instid1(VALU_DEP_4)
	v_dual_mul_f32 v136, 0x3f0a6770, v101 :: v_dual_add_f32 v11, v24, v11
	v_fmac_f32_e32 v18, 0x3f68dda4, v26
	v_dual_add_f32 v5, v7, v6 :: v_dual_fmamk_f32 v6, v90, 0x3f4178ce, v119
	v_fmamk_f32 v7, v87, 0xbf75a155, v120
	v_mul_f32_e32 v83, 0xbe11bafb, v83
	v_fmamk_f32 v31, v63, 0x3f575c64, v34
	v_fmac_f32_e32 v89, 0xbf7d64f0, v90
	v_dual_add_f32 v5, v6, v5 :: v_dual_fmamk_f32 v6, v56, 0x3f68dda4, v121
	v_mul_f32_e32 v85, 0xbf75a155, v85
	v_mul_f32_e32 v60, 0xbf68dda4, v86
	v_dual_add_f32 v24, v25, v29 :: v_dual_add_f32 v25, v8, v31
	s_delay_alu instid0(VALU_DEP_4) | instskip(SKIP_3) | instid1(VALU_DEP_4)
	v_dual_add_f32 v6, v9, v6 :: v_dual_add_f32 v11, v20, v11
	v_fmac_f32_e32 v109, 0x3f68dda4, v90
	v_mul_f32_e32 v31, 0xbf7d64f0, v14
	v_fmamk_f32 v14, v90, 0x3e903f40, v85
	v_dual_add_f32 v6, v125, v6 :: v_dual_fmamk_f32 v125, v58, 0xbe903f40, v126
	v_mul_f32_e32 v28, 0x3f575c64, v28
	v_fmac_f32_e32 v93, 0xbf4178ce, v56
	v_fmamk_f32 v29, v87, 0x3ed4b147, v60
	s_delay_alu instid0(VALU_DEP_4) | instskip(SKIP_2) | instid1(VALU_DEP_4)
	v_dual_fmac_f32 v33, 0xbe903f40, v56 :: v_dual_add_f32 v6, v125, v6
	v_fmamk_f32 v125, v26, 0xbf7d64f0, v128
	v_fmamk_f32 v4, v63, 0xbe11bafb, v118
	v_dual_fmac_f32 v95, 0x3f7d64f0, v10 :: v_dual_add_f32 v20, v29, v25
	v_fmac_f32_e32 v103, 0xbf0a6770, v58
	s_delay_alu instid0(VALU_DEP_4) | instskip(NEXT) | instid1(VALU_DEP_4)
	v_add_f32_e32 v6, v125, v6
	v_dual_add_f32 v4, v8, v4 :: v_dual_fmamk_f32 v125, v90, 0xbf0a6770, v130
	v_dual_add_f32 v13, v13, v24 :: v_dual_fmamk_f32 v24, v91, 0xbe11bafb, v31
	s_delay_alu instid0(VALU_DEP_2)
	v_dual_add_f32 v11, v12, v11 :: v_dual_add_f32 v4, v7, v4
	v_fmamk_f32 v7, v91, 0x3ed4b147, v122
	v_fmac_f32_e32 v119, 0xbf4178ce, v90
	v_fma_f32 v29, 0xbf27a4f4, v87, -v131
	v_fmac_f32_e32 v107, 0xbe903f40, v26
	v_fmac_f32_e32 v111, 0xbf7d64f0, v56
	v_dual_add_f32 v4, v7, v4 :: v_dual_fmamk_f32 v7, v96, 0x3f575c64, v124
	v_fmac_f32_e32 v113, 0x3e903f40, v10
	v_fmac_f32_e32 v115, 0x3f68dda4, v58
	;; [unrolled: 1-line block ×3, first 2 shown]
	s_delay_alu instid0(VALU_DEP_4) | instskip(SKIP_3) | instid1(VALU_DEP_3)
	v_dual_fmac_f32 v117, 0xbf0a6770, v26 :: v_dual_add_f32 v4, v7, v4
	v_fmamk_f32 v7, v105, 0xbf27a4f4, v127
	v_dual_add_f32 v11, v22, v11 :: v_dual_mul_f32 v22, 0xbe903f40, v101
	v_dual_add_f32 v13, v15, v13 :: v_dual_fmac_f32 v128, 0x3f7d64f0, v26
	v_add_f32_e32 v4, v7, v4
	v_fmamk_f32 v7, v63, 0x3ed4b147, v129
	s_delay_alu instid0(VALU_DEP_4) | instskip(NEXT) | instid1(VALU_DEP_4)
	v_add_f32_e32 v11, v32, v11
	v_add_f32_e32 v13, v62, v13
	s_delay_alu instid0(VALU_DEP_3) | instskip(SKIP_1) | instid1(VALU_DEP_4)
	v_dual_fmac_f32 v123, 0xbf4178ce, v10 :: v_dual_add_f32 v132, v8, v7
	v_dual_add_f32 v7, v125, v6 :: v_dual_fmamk_f32 v6, v56, 0x3f0a6770, v28
	v_dual_add_f32 v17, v17, v11 :: v_dual_fmac_f32 v28, 0xbf0a6770, v56
	s_delay_alu instid0(VALU_DEP_2) | instskip(NEXT) | instid1(VALU_DEP_1)
	v_add_f32_e32 v6, v9, v6
	v_dual_add_f32 v6, v135, v6 :: v_dual_fmamk_f32 v135, v58, 0x3f7d64f0, v83
	v_fmac_f32_e32 v83, 0xbf7d64f0, v58
	s_delay_alu instid0(VALU_DEP_2) | instskip(SKIP_2) | instid1(VALU_DEP_3)
	v_add_f32_e32 v135, v135, v6
	v_dual_add_f32 v13, v21, v13 :: v_dual_fmac_f32 v126, 0x3e903f40, v58
	v_add_f32_e32 v21, v9, v111
	v_add_f32_e32 v61, v137, v135
	s_delay_alu instid0(VALU_DEP_3) | instskip(NEXT) | instid1(VALU_DEP_3)
	v_dual_add_f32 v13, v23, v13 :: v_dual_fmac_f32 v130, 0x3f0a6770, v90
	v_add_f32_e32 v21, v113, v21
	s_delay_alu instid0(VALU_DEP_3)
	v_add_f32_e32 v12, v14, v61
	v_add_f32_e32 v14, v24, v20
	v_dual_add_f32 v125, v133, v132 :: v_dual_fmamk_f32 v132, v91, 0xbf75a155, v134
	v_dual_mul_f32 v133, 0x3f7d64f0, v94 :: v_dual_add_f32 v20, v9, v33
	v_add_f32_e32 v13, v19, v13
	v_fma_f32 v19, 0xbf27a4f4, v63, -v108
	s_delay_alu instid0(VALU_DEP_4)
	v_add_f32_e32 v125, v132, v125
	v_fma_f32 v24, 0xbf75a155, v87, -v120
	v_mul_f32_e32 v25, 0xbf4178ce, v94
	v_fmamk_f32 v132, v96, 0xbe11bafb, v133
	v_dual_add_f32 v20, v30, v20 :: v_dual_add_f32 v19, v8, v19
	v_fmac_f32_e32 v59, 0xbf4178ce, v26
	s_delay_alu instid0(VALU_DEP_4) | instskip(NEXT) | instid1(VALU_DEP_4)
	v_fmamk_f32 v15, v96, 0xbf27a4f4, v25
	v_dual_add_f32 v125, v132, v125 :: v_dual_fmamk_f32 v132, v105, 0x3f575c64, v136
	s_delay_alu instid0(VALU_DEP_2) | instskip(SKIP_2) | instid1(VALU_DEP_3)
	v_dual_add_f32 v14, v15, v14 :: v_dual_fmamk_f32 v15, v105, 0xbf75a155, v22
	v_fmac_f32_e32 v57, 0xbf68dda4, v10
	v_fma_f32 v10, 0x3ed4b147, v87, -v60
	v_dual_add_f32 v6, v132, v125 :: v_dual_add_f32 v11, v15, v14
	v_fma_f32 v15, 0xbf75a155, v63, -v84
	v_add_f32_e32 v14, v16, v17
	v_add_f32_e32 v16, v27, v20
	v_fma_f32 v17, 0x3f575c64, v87, -v88
	v_fma_f32 v20, 0xbe11bafb, v87, -v110
	s_delay_alu instid0(VALU_DEP_3) | instskip(NEXT) | instid1(VALU_DEP_2)
	v_dual_add_f32 v15, v8, v15 :: v_dual_add_f32 v16, v18, v16
	v_dual_add_f32 v18, v9, v93 :: v_dual_add_f32 v19, v20, v19
	s_delay_alu instid0(VALU_DEP_2) | instskip(SKIP_2) | instid1(VALU_DEP_2)
	v_add_f32_e32 v15, v17, v15
	v_fma_f32 v17, 0xbf27a4f4, v91, -v92
	v_fma_f32 v20, 0x3f575c64, v91, -v112
	v_dual_add_f32 v18, v95, v18 :: v_dual_add_f32 v15, v17, v15
	v_fma_f32 v17, 0x3ed4b147, v96, -v100
	s_delay_alu instid0(VALU_DEP_2) | instskip(SKIP_1) | instid1(VALU_DEP_3)
	v_dual_add_f32 v18, v103, v18 :: v_dual_add_f32 v19, v20, v19
	v_fma_f32 v20, 0xbf75a155, v96, -v114
	v_add_f32_e32 v15, v17, v15
	v_fma_f32 v17, 0xbe11bafb, v105, -v106
	s_delay_alu instid0(VALU_DEP_3) | instskip(SKIP_1) | instid1(VALU_DEP_3)
	v_add_f32_e32 v19, v20, v19
	v_fma_f32 v20, 0x3ed4b147, v105, -v116
	v_add_f32_e32 v15, v17, v15
	v_add_f32_e32 v17, v107, v18
	s_delay_alu instid0(VALU_DEP_1) | instskip(SKIP_1) | instid1(VALU_DEP_1)
	v_add_f32_e32 v18, v109, v17
	v_fma_f32 v17, 0xbe11bafb, v63, -v118
	v_add_f32_e32 v23, v8, v17
	v_add_f32_e32 v17, v20, v19
	;; [unrolled: 1-line block ×3, first 2 shown]
	v_fma_f32 v21, 0x3ed4b147, v91, -v122
	s_delay_alu instid0(VALU_DEP_4) | instskip(NEXT) | instid1(VALU_DEP_3)
	v_dual_add_f32 v20, v24, v23 :: v_dual_add_f32 v23, v9, v121
	v_add_f32_e32 v19, v117, v19
	v_fma_f32 v24, 0x3f575c64, v96, -v124
	v_add_f32_e32 v9, v9, v28
	s_delay_alu instid0(VALU_DEP_4)
	v_add_f32_e32 v21, v21, v20
	v_add_f32_e32 v23, v123, v23
	;; [unrolled: 1-line block ×3, first 2 shown]
	v_fma_f32 v19, 0x3ed4b147, v63, -v129
	v_add_f32_e32 v9, v57, v9
	v_add_f32_e32 v21, v24, v21
	v_fma_f32 v24, 0xbf27a4f4, v105, -v127
	v_add_f32_e32 v23, v126, v23
	v_add_f32_e32 v27, v8, v19
	v_add_f32_e32 v9, v83, v9
	s_delay_alu instid0(VALU_DEP_4) | instskip(NEXT) | instid1(VALU_DEP_4)
	v_add_f32_e32 v19, v24, v21
	v_add_f32_e32 v21, v128, v23
	v_fma_f32 v23, 0x3f575c64, v63, -v34
	v_add_f32_e32 v24, v29, v27
	v_fma_f32 v27, 0xbf75a155, v91, -v134
	v_add_f32_e32 v26, v59, v9
	s_delay_alu instid0(VALU_DEP_4) | instskip(SKIP_1) | instid1(VALU_DEP_4)
	v_dual_add_f32 v9, v130, v21 :: v_dual_add_f32 v8, v8, v23
	v_add_f32_e32 v13, v35, v13
	v_add_f32_e32 v23, v27, v24
	v_fma_f32 v24, 0xbe11bafb, v96, -v133
	v_fma_f32 v27, 0xbf75a155, v105, -v22
	v_add_f32_e32 v8, v10, v8
	v_fma_f32 v10, 0xbe11bafb, v91, -v31
	s_delay_alu instid0(VALU_DEP_4) | instskip(SKIP_1) | instid1(VALU_DEP_3)
	v_add_f32_e32 v23, v24, v23
	v_fma_f32 v24, 0x3f575c64, v105, -v136
	v_add_f32_e32 v8, v10, v8
	v_fma_f32 v10, 0xbf27a4f4, v96, -v25
	v_mul_u32_u24_e32 v25, 0xa5, v102
	v_dual_add_f32 v16, v89, v16 :: v_dual_fmac_f32 v85, 0xbe903f40, v90
	s_delay_alu instid0(VALU_DEP_3) | instskip(NEXT) | instid1(VALU_DEP_3)
	v_add_f32_e32 v10, v10, v8
	v_add_lshl_u32 v25, v25, v99, 3
	v_add_f32_e32 v8, v24, v23
	s_delay_alu instid0(VALU_DEP_4) | instskip(NEXT) | instid1(VALU_DEP_4)
	v_add_f32_e32 v22, v85, v26
	v_add_f32_e32 v21, v27, v10
	ds_store_2addr_b64 v25, v[13:14], v[11:12] offset1:15
	ds_store_2addr_b64 v25, v[6:7], v[4:5] offset0:30 offset1:45
	ds_store_2addr_b64 v25, v[2:3], v[0:1] offset0:60 offset1:75
	;; [unrolled: 1-line block ×4, first 2 shown]
	ds_store_b64 v25, v[21:22] offset:1200
.LBB0_17:
	s_wait_alu 0xfffe
	s_or_b32 exec_lo, exec_lo, s1
	global_wb scope:SCOPE_SE
	s_wait_dscnt 0x0
	s_barrier_signal -1
	s_barrier_wait -1
	global_inv scope:SCOPE_SE
	ds_load_b64 v[16:17], v98 offset:10560
	v_add_nc_u32_e32 v18, 0x800, v98
	v_add_nc_u32_e32 v19, 0x1e00, v98
	;; [unrolled: 1-line block ×3, first 2 shown]
	s_mov_b32 s0, 0xef473283
	s_mov_b32 s1, 0x3f4610e4
	s_wait_dscnt 0x0
	v_mul_f32_e32 v20, v43, v17
	v_mul_f32_e32 v21, v43, v16
	ds_load_2addr_b64 v[0:3], v18 offset0:74 offset1:239
	ds_load_2addr_b64 v[4:7], v19 offset0:30 offset1:195
	ds_load_2addr_b64 v[8:11], v22 offset0:20 offset1:185
	ds_load_2addr_b64 v[12:15], v98 offset1:165
	global_wb scope:SCOPE_SE
	s_wait_dscnt 0x0
	s_barrier_signal -1
	s_barrier_wait -1
	v_fma_f32 v17, v42, v17, -v21
	global_inv scope:SCOPE_SE
	v_mul_f32_e32 v23, v37, v3
	v_dual_mul_f32 v24, v37, v2 :: v_dual_mul_f32 v25, v39, v5
	v_dual_mul_f32 v26, v39, v4 :: v_dual_mul_f32 v27, v37, v9
	;; [unrolled: 1-line block ×4, first 2 shown]
	s_delay_alu instid0(VALU_DEP_4) | instskip(SKIP_4) | instid1(VALU_DEP_4)
	v_dual_mul_f32 v32, v41, v10 :: v_dual_fmac_f32 v25, v38, v4
	v_dual_fmac_f32 v20, v42, v16 :: v_dual_fmac_f32 v23, v36, v2
	v_fma_f32 v3, v36, v3, -v24
	v_fma_f32 v5, v38, v5, -v26
	v_fmac_f32_e32 v27, v36, v8
	v_dual_fmac_f32 v29, v38, v6 :: v_dual_add_f32 v4, v12, v23
	s_delay_alu instid0(VALU_DEP_3) | instskip(SKIP_4) | instid1(VALU_DEP_4)
	v_dual_fmac_f32 v31, v40, v10 :: v_dual_add_f32 v6, v3, v5
	v_add_f32_e32 v2, v23, v25
	v_fma_f32 v9, v36, v9, -v28
	v_fma_f32 v16, v38, v7, -v30
	v_dual_sub_f32 v7, v3, v5 :: v_dual_add_f32 v8, v13, v3
	v_fma_f32 v2, -0.5, v2, v12
	v_sub_f32_e32 v10, v23, v25
	v_fma_f32 v3, -0.5, v6, v13
	v_fma_f32 v21, v40, v11, -v32
	v_dual_add_f32 v11, v14, v27 :: v_dual_add_f32 v4, v4, v25
	v_dual_fmamk_f32 v6, v7, 0xbf5db3d7, v2 :: v_dual_add_f32 v5, v8, v5
	v_fmac_f32_e32 v2, 0x3f5db3d7, v7
	v_dual_add_f32 v8, v27, v29 :: v_dual_fmamk_f32 v7, v10, 0x3f5db3d7, v3
	v_dual_fmac_f32 v3, 0xbf5db3d7, v10 :: v_dual_add_f32 v10, v9, v16
	v_sub_f32_e32 v13, v27, v29
	s_delay_alu instid0(VALU_DEP_3) | instskip(SKIP_1) | instid1(VALU_DEP_4)
	v_fma_f32 v14, -0.5, v8, v14
	v_dual_sub_f32 v12, v9, v16 :: v_dual_add_f32 v9, v15, v9
	v_dual_fmac_f32 v15, -0.5, v10 :: v_dual_add_f32 v8, v11, v29
	s_delay_alu instid0(VALU_DEP_2) | instskip(NEXT) | instid1(VALU_DEP_2)
	v_dual_sub_f32 v23, v21, v17 :: v_dual_fmamk_f32 v10, v12, 0xbf5db3d7, v14
	v_dual_fmac_f32 v14, 0x3f5db3d7, v12 :: v_dual_fmamk_f32 v11, v13, 0x3f5db3d7, v15
	v_dual_add_f32 v12, v31, v20 :: v_dual_fmac_f32 v15, 0xbf5db3d7, v13
	v_add_f32_e32 v13, v21, v17
	v_dual_add_f32 v9, v9, v16 :: v_dual_add_f32 v16, v0, v31
	s_delay_alu instid0(VALU_DEP_3) | instskip(SKIP_1) | instid1(VALU_DEP_3)
	v_fma_f32 v0, -0.5, v12, v0
	v_dual_add_f32 v21, v1, v21 :: v_dual_sub_f32 v24, v31, v20
	v_dual_fmac_f32 v1, -0.5, v13 :: v_dual_add_f32 v12, v16, v20
	s_delay_alu instid0(VALU_DEP_2) | instskip(NEXT) | instid1(VALU_DEP_2)
	v_dual_fmamk_f32 v16, v23, 0xbf5db3d7, v0 :: v_dual_add_f32 v13, v21, v17
	v_dual_fmac_f32 v0, 0x3f5db3d7, v23 :: v_dual_fmamk_f32 v17, v24, 0x3f5db3d7, v1
	v_add_nc_u32_e32 v20, 0x1e00, v104
	v_fmac_f32_e32 v1, 0xbf5db3d7, v24
	ds_store_2addr_b64 v98, v[4:5], v[6:7] offset1:165
	ds_store_2addr_b64 v18, v[2:3], v[8:9] offset0:74 offset1:239
	ds_store_2addr_b64 v22, v[10:11], v[14:15] offset0:20 offset1:185
	;; [unrolled: 1-line block ×3, first 2 shown]
	ds_store_b64 v104, v[0:1] offset:10560
	global_wb scope:SCOPE_SE
	s_wait_dscnt 0x0
	s_barrier_signal -1
	s_barrier_wait -1
	global_inv scope:SCOPE_SE
	ds_load_2addr_b64 v[0:3], v18 offset0:74 offset1:239
	ds_load_2addr_b64 v[4:7], v19 offset0:30 offset1:195
	;; [unrolled: 1-line block ×3, first 2 shown]
	ds_load_b64 v[16:17], v98 offset:10560
	ds_load_2addr_b64 v[12:15], v98 offset1:165
	s_wait_dscnt 0x4
	v_mul_f32_e32 v20, v53, v3
	v_mul_f32_e32 v21, v53, v2
	s_wait_dscnt 0x3
	v_mul_f32_e32 v23, v55, v5
	v_mul_f32_e32 v24, v51, v7
	s_wait_dscnt 0x2
	v_dual_mul_f32 v25, v45, v11 :: v_dual_fmac_f32 v20, v52, v2
	v_mul_f32_e32 v2, v55, v4
	v_fma_f32 v3, v52, v3, -v21
	v_mul_f32_e32 v21, v49, v9
	v_fmac_f32_e32 v23, v54, v4
	s_wait_dscnt 0x1
	v_dual_mul_f32 v4, v49, v8 :: v_dual_mul_f32 v27, v47, v17
	v_fma_f32 v5, v54, v5, -v2
	v_dual_fmac_f32 v21, v48, v8 :: v_dual_mul_f32 v2, v51, v6
	s_delay_alu instid0(VALU_DEP_3) | instskip(NEXT) | instid1(VALU_DEP_4)
	v_fma_f32 v9, v48, v9, -v4
	v_dual_mul_f32 v4, v45, v10 :: v_dual_fmac_f32 v27, v46, v16
	v_fmac_f32_e32 v24, v50, v6
	s_delay_alu instid0(VALU_DEP_4) | instskip(SKIP_1) | instid1(VALU_DEP_4)
	v_fma_f32 v26, v50, v7, -v2
	v_dual_fmac_f32 v25, v44, v10 :: v_dual_mul_f32 v2, v47, v16
	v_fma_f32 v28, v44, v11, -v4
	v_dual_add_f32 v4, v20, v23 :: v_dual_add_f32 v7, v3, v5
	v_dual_sub_f32 v8, v3, v5 :: v_dual_sub_f32 v11, v20, v23
	s_delay_alu instid0(VALU_DEP_4) | instskip(SKIP_1) | instid1(VALU_DEP_3)
	v_fma_f32 v17, v46, v17, -v2
	s_wait_dscnt 0x0
	v_fma_f32 v2, -0.5, v4, v12
	v_add_f32_e32 v10, v13, v3
	v_add_f32_e32 v6, v12, v20
	v_fma_f32 v3, -0.5, v7, v13
	v_sub_f32_e32 v13, v21, v24
	s_delay_alu instid0(VALU_DEP_4) | instskip(NEXT) | instid1(VALU_DEP_3)
	v_dual_sub_f32 v12, v9, v26 :: v_dual_add_f32 v5, v10, v5
	v_dual_add_f32 v4, v6, v23 :: v_dual_fmamk_f32 v7, v11, 0x3f5db3d7, v3
	v_dual_fmamk_f32 v6, v8, 0xbf5db3d7, v2 :: v_dual_fmac_f32 v3, 0xbf5db3d7, v11
	v_dual_fmac_f32 v2, 0x3f5db3d7, v8 :: v_dual_add_f32 v11, v9, v26
	v_add_f32_e32 v8, v21, v24
	v_add_f32_e32 v10, v14, v21
	;; [unrolled: 1-line block ×3, first 2 shown]
	s_delay_alu instid0(VALU_DEP_4) | instskip(NEXT) | instid1(VALU_DEP_4)
	v_dual_add_f32 v16, v0, v25 :: v_dual_fmac_f32 v15, -0.5, v11
	v_fma_f32 v14, -0.5, v8, v14
	s_delay_alu instid0(VALU_DEP_3) | instskip(SKIP_1) | instid1(VALU_DEP_4)
	v_dual_add_f32 v8, v10, v24 :: v_dual_add_f32 v9, v9, v26
	v_add_f32_e32 v21, v1, v28
	v_fmamk_f32 v11, v13, 0x3f5db3d7, v15
	s_delay_alu instid0(VALU_DEP_4) | instskip(SKIP_3) | instid1(VALU_DEP_3)
	v_dual_fmac_f32 v15, 0xbf5db3d7, v13 :: v_dual_fmamk_f32 v10, v12, 0xbf5db3d7, v14
	v_dual_fmac_f32 v14, 0x3f5db3d7, v12 :: v_dual_add_f32 v13, v28, v17
	v_add_f32_e32 v12, v25, v27
	v_dual_sub_f32 v20, v28, v17 :: v_dual_sub_f32 v23, v25, v27
	v_fmac_f32_e32 v1, -0.5, v13
	s_delay_alu instid0(VALU_DEP_3) | instskip(SKIP_1) | instid1(VALU_DEP_3)
	v_fma_f32 v0, -0.5, v12, v0
	v_dual_add_f32 v12, v16, v27 :: v_dual_add_f32 v13, v21, v17
	v_fmamk_f32 v17, v23, 0x3f5db3d7, v1
	s_delay_alu instid0(VALU_DEP_3)
	v_dual_fmamk_f32 v16, v20, 0xbf5db3d7, v0 :: v_dual_fmac_f32 v1, 0xbf5db3d7, v23
	v_fmac_f32_e32 v0, 0x3f5db3d7, v20
	v_add_nc_u32_e32 v20, 0x2400, v98
	ds_store_b64 v98, v[6:7] offset:3960
	ds_store_b64 v98, v[2:3] offset:7920
	ds_store_2addr_b64 v98, v[4:5], v[8:9] offset1:165
	ds_store_b64 v98, v[12:13] offset:2640
	ds_store_2addr_b64 v22, v[10:11], v[16:17] offset0:20 offset1:185
	ds_store_2addr_b64 v20, v[14:15], v[0:1] offset0:3 offset1:168
	global_wb scope:SCOPE_SE
	s_wait_dscnt 0x0
	s_barrier_signal -1
	s_barrier_wait -1
	global_inv scope:SCOPE_SE
	ds_load_2addr_b64 v[0:3], v98 offset1:165
	ds_load_2addr_b64 v[4:7], v18 offset0:74 offset1:239
	ds_load_2addr_b64 v[8:11], v19 offset0:30 offset1:195
	v_mad_co_u64_u32 v[16:17], null, s6, v64, 0
	ds_load_b64 v[28:29], v98 offset:10560
	s_wait_dscnt 0x3
	v_mul_f32_e32 v13, v82, v0
	v_mul_f32_e32 v12, v82, v1
	s_wait_dscnt 0x2
	v_mul_f32_e32 v24, v76, v7
	s_wait_dscnt 0x1
	;; [unrolled: 2-line block ×3, first 2 shown]
	v_dual_mul_f32 v32, v68, v11 :: v_dual_mul_f32 v39, v74, v28
	v_fma_f32 v1, v81, v1, -v13
	s_delay_alu instid0(VALU_DEP_2) | instskip(NEXT) | instid1(VALU_DEP_2)
	v_fma_f32 v40, v73, v29, -v39
	v_cvt_f64_f32_e32 v[20:21], v1
	v_dual_mul_f32 v1, v76, v6 :: v_dual_fmac_f32 v12, v81, v0
	s_delay_alu instid0(VALU_DEP_3) | instskip(NEXT) | instid1(VALU_DEP_2)
	v_cvt_f64_f32_e32 v[40:41], v40
	v_fma_f32 v1, v75, v7, -v1
	v_mul_f32_e32 v7, v80, v2
	s_delay_alu instid0(VALU_DEP_4)
	v_cvt_f64_f32_e32 v[18:19], v12
	ds_load_2addr_b64 v[12:15], v22 offset0:20 offset1:185
	v_mul_f32_e32 v26, v80, v3
	v_mov_b32_e32 v0, v17
	v_fma_f32 v3, v79, v3, -v7
	v_dual_mul_f32 v17, v78, v8 :: v_dual_fmac_f32 v24, v75, v6
	v_mul_f32_e32 v6, v78, v9
	v_mad_co_u64_u32 v[22:23], null, s4, v97, 0
	s_delay_alu instid0(VALU_DEP_4) | instskip(NEXT) | instid1(VALU_DEP_3)
	v_cvt_f64_f32_e32 v[30:31], v3
	v_fmac_f32_e32 v6, v77, v8
	v_fma_f32 v8, v77, v9, -v17
	s_delay_alu instid0(VALU_DEP_1) | instskip(SKIP_4) | instid1(VALU_DEP_3)
	v_cvt_f64_f32_e32 v[8:9], v8
	s_wait_dscnt 0x0
	v_mul_f32_e32 v3, v70, v13
	v_mul_f32_e32 v17, v70, v12
	v_cvt_f64_f32_e32 v[24:25], v24
	v_dual_fmac_f32 v3, v69, v12 :: v_dual_fmac_f32 v26, v79, v2
	v_cvt_f64_f32_e32 v[1:2], v1
	s_delay_alu instid0(VALU_DEP_4) | instskip(SKIP_3) | instid1(VALU_DEP_3)
	v_fma_f32 v12, v69, v13, -v17
	v_fma_f32 v17, v67, v11, -v33
	s_wait_alu 0xfffe
	v_mul_f64_e32 v[20:21], s[0:1], v[20:21]
	v_cvt_f64_f32_e32 v[12:13], v12
	s_delay_alu instid0(VALU_DEP_3) | instskip(SKIP_3) | instid1(VALU_DEP_3)
	v_cvt_f64_f32_e32 v[34:35], v17
	v_dual_mul_f32 v17, v72, v15 :: v_dual_mul_f32 v36, v66, v5
	v_cvt_f64_f32_e32 v[6:7], v6
	v_mul_f64_e32 v[18:19], s[0:1], v[18:19]
	v_fmac_f32_e32 v17, v71, v14
	v_mul_f64_e32 v[24:25], s[0:1], v[24:25]
	v_mad_co_u64_u32 v[42:43], null, s7, v64, v[0:1]
	v_mov_b32_e32 v0, v23
	v_fmac_f32_e32 v32, v67, v10
	v_cvt_f64_f32_e32 v[10:11], v3
	v_mul_f32_e32 v3, v66, v4
	v_cvt_f64_f32_e32 v[26:27], v26
	v_mad_co_u64_u32 v[43:44], null, s5, v97, v[0:1]
	v_fmac_f32_e32 v36, v65, v4
	v_mul_f32_e32 v4, v72, v14
	v_fma_f32 v3, v65, v5, -v3
	v_mul_f64_e32 v[0:1], s[0:1], v[1:2]
	v_cvt_f32_f64_e32 v18, v[18:19]
	v_cvt_f32_f64_e32 v19, v[20:21]
	v_fma_f32 v5, v71, v15, -v4
	v_cvt_f64_f32_e32 v[14:15], v17
	v_mov_b32_e32 v17, v42
	v_cvt_f64_f32_e32 v[32:33], v32
	v_cvt_f64_f32_e32 v[3:4], v3
	v_mov_b32_e32 v23, v43
	v_cvt_f64_f32_e32 v[36:37], v36
	v_lshlrev_b64_e32 v[16:17], 3, v[16:17]
	s_delay_alu instid0(VALU_DEP_3) | instskip(NEXT) | instid1(VALU_DEP_2)
	v_lshlrev_b64_e32 v[22:23], 3, v[22:23]
	v_add_co_u32 v42, vcc_lo, s2, v16
	s_mul_i32 s2, s5, 0xffffe638
	s_wait_alu 0xfffd
	s_delay_alu instid0(VALU_DEP_3)
	v_add_co_ci_u32_e32 v43, vcc_lo, s3, v17, vcc_lo
	s_wait_alu 0xfffe
	s_sub_co_i32 s2, s2, s4
	v_mul_f32_e32 v38, v74, v29
	v_mul_f64_e32 v[16:17], s[0:1], v[30:31]
	v_add_co_u32 v22, vcc_lo, v42, v22
	s_wait_alu 0xfffd
	v_add_co_ci_u32_e32 v23, vcc_lo, v43, v23, vcc_lo
	v_fmac_f32_e32 v38, v73, v28
	v_cvt_f64_f32_e32 v[28:29], v5
	v_mul_f64_e32 v[5:6], s[0:1], v[6:7]
	v_mul_f64_e32 v[7:8], s[0:1], v[8:9]
	;; [unrolled: 1-line block ×3, first 2 shown]
	v_cvt_f64_f32_e32 v[38:39], v38
	v_mul_f64_e32 v[9:10], s[0:1], v[10:11]
	v_mul_f64_e32 v[11:12], s[0:1], v[12:13]
	v_cvt_f32_f64_e32 v20, v[24:25]
	v_cvt_f32_f64_e32 v21, v[0:1]
	v_mul_f64_e32 v[13:14], s[0:1], v[14:15]
	v_mul_f64_e32 v[30:31], s[0:1], v[32:33]
	;; [unrolled: 1-line block ×6, first 2 shown]
	v_cvt_f32_f64_e32 v0, v[5:6]
	v_cvt_f32_f64_e32 v1, v[7:8]
	;; [unrolled: 1-line block ×3, first 2 shown]
	v_mul_f64_e32 v[36:37], s[0:1], v[38:39]
	v_mul_f64_e32 v[38:39], s[0:1], v[40:41]
	s_mul_u64 s[0:1], s[4:5], 0xf78
	v_cvt_f32_f64_e32 v5, v[16:17]
	s_wait_alu 0xfffe
	v_add_co_u32 v40, vcc_lo, v22, s0
	s_wait_alu 0xfffd
	v_add_co_ci_u32_e32 v41, vcc_lo, s1, v23, vcc_lo
	v_cvt_f32_f64_e32 v6, v[9:10]
	s_delay_alu instid0(VALU_DEP_3) | instskip(SKIP_1) | instid1(VALU_DEP_3)
	v_add_co_u32 v42, vcc_lo, v40, s0
	s_wait_alu 0xfffd
	v_add_co_ci_u32_e32 v43, vcc_lo, s1, v41, vcc_lo
	v_cvt_f32_f64_e32 v7, v[11:12]
	v_cvt_f32_f64_e32 v8, v[30:31]
	;; [unrolled: 1-line block ×3, first 2 shown]
	s_delay_alu instid0(VALU_DEP_4)
	v_mad_co_u64_u32 v[24:25], null, 0xffffe638, s4, v[42:43]
	v_cvt_f32_f64_e32 v10, v[34:35]
	v_cvt_f32_f64_e32 v11, v[2:3]
	;; [unrolled: 1-line block ×3, first 2 shown]
	s_clause 0x1
	global_store_b64 v[22:23], v[18:19], off
	global_store_b64 v[40:41], v[20:21], off
	v_add_nc_u32_e32 v25, s2, v25
	v_add_co_u32 v14, vcc_lo, v24, s0
	s_wait_alu 0xfffd
	s_delay_alu instid0(VALU_DEP_2) | instskip(NEXT) | instid1(VALU_DEP_2)
	v_add_co_ci_u32_e32 v15, vcc_lo, s1, v25, vcc_lo
	v_add_co_u32 v16, vcc_lo, v14, s0
	v_cvt_f32_f64_e32 v3, v[28:29]
	s_wait_alu 0xfffd
	s_delay_alu instid0(VALU_DEP_3)
	v_add_co_ci_u32_e32 v17, vcc_lo, s1, v15, vcc_lo
	global_store_b64 v[42:43], v[0:1], off
	v_cvt_f32_f64_e32 v12, v[36:37]
	v_cvt_f32_f64_e32 v13, v[38:39]
	v_mad_co_u64_u32 v[26:27], null, 0xffffe638, s4, v[16:17]
	global_store_b64 v[24:25], v[4:5], off
	v_add_nc_u32_e32 v27, s2, v27
	v_add_co_u32 v0, vcc_lo, v26, s0
	s_wait_alu 0xfffd
	s_delay_alu instid0(VALU_DEP_2) | instskip(NEXT) | instid1(VALU_DEP_2)
	v_add_co_ci_u32_e32 v1, vcc_lo, s1, v27, vcc_lo
	v_add_co_u32 v4, vcc_lo, v0, s0
	s_wait_alu 0xfffd
	s_delay_alu instid0(VALU_DEP_2)
	v_add_co_ci_u32_e32 v5, vcc_lo, s1, v1, vcc_lo
	global_store_b64 v[14:15], v[6:7], off
	global_store_b64 v[16:17], v[8:9], off
	;; [unrolled: 1-line block ×5, first 2 shown]
.LBB0_18:
	s_nop 0
	s_sendmsg sendmsg(MSG_DEALLOC_VGPRS)
	s_endpgm
	.section	.rodata,"a",@progbits
	.p2align	6, 0x0
	.amdhsa_kernel bluestein_single_fwd_len1485_dim1_sp_op_CI_CI
		.amdhsa_group_segment_fixed_size 11880
		.amdhsa_private_segment_fixed_size 0
		.amdhsa_kernarg_size 104
		.amdhsa_user_sgpr_count 2
		.amdhsa_user_sgpr_dispatch_ptr 0
		.amdhsa_user_sgpr_queue_ptr 0
		.amdhsa_user_sgpr_kernarg_segment_ptr 1
		.amdhsa_user_sgpr_dispatch_id 0
		.amdhsa_user_sgpr_private_segment_size 0
		.amdhsa_wavefront_size32 1
		.amdhsa_uses_dynamic_stack 0
		.amdhsa_enable_private_segment 0
		.amdhsa_system_sgpr_workgroup_id_x 1
		.amdhsa_system_sgpr_workgroup_id_y 0
		.amdhsa_system_sgpr_workgroup_id_z 0
		.amdhsa_system_sgpr_workgroup_info 0
		.amdhsa_system_vgpr_workitem_id 0
		.amdhsa_next_free_vgpr 183
		.amdhsa_next_free_sgpr 16
		.amdhsa_reserve_vcc 1
		.amdhsa_float_round_mode_32 0
		.amdhsa_float_round_mode_16_64 0
		.amdhsa_float_denorm_mode_32 3
		.amdhsa_float_denorm_mode_16_64 3
		.amdhsa_fp16_overflow 0
		.amdhsa_workgroup_processor_mode 1
		.amdhsa_memory_ordered 1
		.amdhsa_forward_progress 0
		.amdhsa_round_robin_scheduling 0
		.amdhsa_exception_fp_ieee_invalid_op 0
		.amdhsa_exception_fp_denorm_src 0
		.amdhsa_exception_fp_ieee_div_zero 0
		.amdhsa_exception_fp_ieee_overflow 0
		.amdhsa_exception_fp_ieee_underflow 0
		.amdhsa_exception_fp_ieee_inexact 0
		.amdhsa_exception_int_div_zero 0
	.end_amdhsa_kernel
	.text
.Lfunc_end0:
	.size	bluestein_single_fwd_len1485_dim1_sp_op_CI_CI, .Lfunc_end0-bluestein_single_fwd_len1485_dim1_sp_op_CI_CI
                                        ; -- End function
	.section	.AMDGPU.csdata,"",@progbits
; Kernel info:
; codeLenInByte = 13280
; NumSgprs: 18
; NumVgprs: 183
; ScratchSize: 0
; MemoryBound: 0
; FloatMode: 240
; IeeeMode: 1
; LDSByteSize: 11880 bytes/workgroup (compile time only)
; SGPRBlocks: 2
; VGPRBlocks: 22
; NumSGPRsForWavesPerEU: 18
; NumVGPRsForWavesPerEU: 183
; Occupancy: 8
; WaveLimiterHint : 1
; COMPUTE_PGM_RSRC2:SCRATCH_EN: 0
; COMPUTE_PGM_RSRC2:USER_SGPR: 2
; COMPUTE_PGM_RSRC2:TRAP_HANDLER: 0
; COMPUTE_PGM_RSRC2:TGID_X_EN: 1
; COMPUTE_PGM_RSRC2:TGID_Y_EN: 0
; COMPUTE_PGM_RSRC2:TGID_Z_EN: 0
; COMPUTE_PGM_RSRC2:TIDIG_COMP_CNT: 0
	.text
	.p2alignl 7, 3214868480
	.fill 96, 4, 3214868480
	.type	__hip_cuid_8a17158bab89ec92,@object ; @__hip_cuid_8a17158bab89ec92
	.section	.bss,"aw",@nobits
	.globl	__hip_cuid_8a17158bab89ec92
__hip_cuid_8a17158bab89ec92:
	.byte	0                               ; 0x0
	.size	__hip_cuid_8a17158bab89ec92, 1

	.ident	"AMD clang version 19.0.0git (https://github.com/RadeonOpenCompute/llvm-project roc-6.4.0 25133 c7fe45cf4b819c5991fe208aaa96edf142730f1d)"
	.section	".note.GNU-stack","",@progbits
	.addrsig
	.addrsig_sym __hip_cuid_8a17158bab89ec92
	.amdgpu_metadata
---
amdhsa.kernels:
  - .args:
      - .actual_access:  read_only
        .address_space:  global
        .offset:         0
        .size:           8
        .value_kind:     global_buffer
      - .actual_access:  read_only
        .address_space:  global
        .offset:         8
        .size:           8
        .value_kind:     global_buffer
      - .actual_access:  read_only
        .address_space:  global
        .offset:         16
        .size:           8
        .value_kind:     global_buffer
      - .actual_access:  read_only
        .address_space:  global
        .offset:         24
        .size:           8
        .value_kind:     global_buffer
      - .actual_access:  read_only
        .address_space:  global
        .offset:         32
        .size:           8
        .value_kind:     global_buffer
      - .offset:         40
        .size:           8
        .value_kind:     by_value
      - .address_space:  global
        .offset:         48
        .size:           8
        .value_kind:     global_buffer
      - .address_space:  global
        .offset:         56
        .size:           8
        .value_kind:     global_buffer
      - .address_space:  global
        .offset:         64
        .size:           8
        .value_kind:     global_buffer
      - .address_space:  global
        .offset:         72
        .size:           8
        .value_kind:     global_buffer
      - .offset:         80
        .size:           4
        .value_kind:     by_value
      - .address_space:  global
        .offset:         88
        .size:           8
        .value_kind:     global_buffer
      - .address_space:  global
        .offset:         96
        .size:           8
        .value_kind:     global_buffer
    .group_segment_fixed_size: 11880
    .kernarg_segment_align: 8
    .kernarg_segment_size: 104
    .language:       OpenCL C
    .language_version:
      - 2
      - 0
    .max_flat_workgroup_size: 165
    .name:           bluestein_single_fwd_len1485_dim1_sp_op_CI_CI
    .private_segment_fixed_size: 0
    .sgpr_count:     18
    .sgpr_spill_count: 0
    .symbol:         bluestein_single_fwd_len1485_dim1_sp_op_CI_CI.kd
    .uniform_work_group_size: 1
    .uses_dynamic_stack: false
    .vgpr_count:     183
    .vgpr_spill_count: 0
    .wavefront_size: 32
    .workgroup_processor_mode: 1
amdhsa.target:   amdgcn-amd-amdhsa--gfx1201
amdhsa.version:
  - 1
  - 2
...

	.end_amdgpu_metadata
